;; amdgpu-corpus repo=ROCm/rocFFT kind=compiled arch=gfx1100 opt=O3
	.text
	.amdgcn_target "amdgcn-amd-amdhsa--gfx1100"
	.amdhsa_code_object_version 6
	.protected	bluestein_single_fwd_len1632_dim1_dp_op_CI_CI ; -- Begin function bluestein_single_fwd_len1632_dim1_dp_op_CI_CI
	.globl	bluestein_single_fwd_len1632_dim1_dp_op_CI_CI
	.p2align	8
	.type	bluestein_single_fwd_len1632_dim1_dp_op_CI_CI,@function
bluestein_single_fwd_len1632_dim1_dp_op_CI_CI: ; @bluestein_single_fwd_len1632_dim1_dp_op_CI_CI
; %bb.0:
	s_load_b128 s[8:11], s[0:1], 0x28
	v_mul_u32_u24_e32 v1, 0x283, v0
	s_mov_b32 s2, exec_lo
	v_mov_b32_e32 v4, 0
	s_delay_alu instid0(VALU_DEP_2) | instskip(NEXT) | instid1(VALU_DEP_1)
	v_lshrrev_b32_e32 v1, 16, v1
	v_add_nc_u32_e32 v3, s15, v1
	s_delay_alu instid0(VALU_DEP_1)
	v_mov_b32_e32 v2, v3
	scratch_store_b64 off, v[2:3], off      ; 8-byte Folded Spill
	s_waitcnt lgkmcnt(0)
	v_cmpx_gt_u64_e64 s[8:9], v[3:4]
	s_cbranch_execz .LBB0_23
; %bb.1:
	v_mul_lo_u16 v1, 0x66, v1
	s_clause 0x1
	s_load_b64 s[8:9], s[0:1], 0x0
	s_load_b64 s[12:13], s[0:1], 0x38
	s_delay_alu instid0(VALU_DEP_1) | instskip(NEXT) | instid1(VALU_DEP_1)
	v_sub_nc_u16 v0, v0, v1
	v_and_b32_e32 v176, 0xffff, v0
	v_cmp_gt_u16_e32 vcc_lo, 0x60, v0
	s_delay_alu instid0(VALU_DEP_2)
	v_or_b32_e32 v0, 0x180, v176
	v_lshlrev_b32_e32 v255, 4, v176
	scratch_store_b32 off, v0, off offset:632 ; 4-byte Folded Spill
	v_or_b32_e32 v0, 0x300, v176
	scratch_store_b32 off, v0, off offset:628 ; 4-byte Folded Spill
	v_or_b32_e32 v0, 0x480, v176
	;; [unrolled: 2-line block ×3, first 2 shown]
	scratch_store_b32 off, v0, off offset:620 ; 4-byte Folded Spill
	s_and_saveexec_b32 s3, vcc_lo
	s_cbranch_execz .LBB0_3
; %bb.2:
	s_load_b64 s[4:5], s[0:1], 0x18
	s_waitcnt lgkmcnt(0)
	v_add_co_u32 v12, s2, s8, v255
	s_delay_alu instid0(VALU_DEP_1) | instskip(SKIP_1) | instid1(VALU_DEP_3)
	v_add_co_ci_u32_e64 v13, null, s9, 0, s2
	v_or_b32_e32 v39, 0x180, v176
	v_add_co_u32 v22, s2, 0x1000, v12
	s_delay_alu instid0(VALU_DEP_1) | instskip(NEXT) | instid1(VALU_DEP_3)
	v_add_co_ci_u32_e64 v23, s2, 0, v13, s2
	v_lshlrev_b32_e32 v14, 4, v39
	v_or_b32_e32 v38, 0x300, v176
	v_add_co_u32 v62, s2, 0x2000, v12
	s_delay_alu instid0(VALU_DEP_1)
	v_add_co_ci_u32_e64 v63, s2, 0, v13, s2
	v_or_b32_e32 v94, 0x480, v176
	v_or_b32_e32 v93, 0x600, v176
	s_load_b128 s[4:7], s[4:5], 0x0
	s_clause 0x5
	global_load_b128 v[0:3], v255, s[8:9]
	global_load_b128 v[4:7], v255, s[8:9] offset:1536
	global_load_b128 v[8:11], v255, s[8:9] offset:3072
	global_load_b128 v[14:17], v14, s[8:9]
	global_load_b128 v[18:21], v[22:23], off offset:512
	global_load_b128 v[22:25], v[22:23], off offset:3584
	scratch_load_b64 v[26:27], off, off     ; 8-byte Folded Reload
	s_waitcnt lgkmcnt(0)
	v_mad_u64_u32 v[28:29], null, s4, v176, 0
	v_mad_u64_u32 v[30:31], null, s4, v39, 0
	s_mul_i32 s2, s5, 0x600
	s_mul_hi_u32 s15, s4, 0x600
	v_mad_u64_u32 v[82:83], null, s4, v94, 0
	s_mul_i32 s16, s5, 0xc00
	s_mul_hi_u32 s17, s4, 0xc00
	s_delay_alu instid0(VALU_DEP_2) | instskip(SKIP_3) | instid1(VALU_DEP_3)
	v_mad_u64_u32 v[35:36], null, s5, v176, v[29:30]
	s_mul_i32 s14, s4, 0xc00
	s_add_i32 s17, s17, s16
	v_mad_u64_u32 v[84:85], null, s4, v93, 0
	v_mov_b32_e32 v80, v83
	s_delay_alu instid0(VALU_DEP_3) | instskip(NEXT) | instid1(VALU_DEP_2)
	v_mov_b32_e32 v29, v35
	v_mad_u64_u32 v[86:87], null, s5, v94, v[80:81]
	s_delay_alu instid0(VALU_DEP_1) | instskip(NEXT) | instid1(VALU_DEP_1)
	v_dual_mov_b32 v80, v85 :: v_dual_mov_b32 v83, v86
	v_mad_u64_u32 v[89:90], null, s5, v93, v[80:81]
	v_lshlrev_b32_e32 v86, 4, v94
	v_lshlrev_b32_e32 v94, 4, v93
	s_delay_alu instid0(VALU_DEP_4) | instskip(NEXT) | instid1(VALU_DEP_4)
	v_lshlrev_b64 v[82:83], 4, v[82:83]
	v_mov_b32_e32 v85, v89
	s_delay_alu instid0(VALU_DEP_1) | instskip(SKIP_2) | instid1(VALU_DEP_1)
	v_lshlrev_b64 v[84:85], 4, v[84:85]
	s_waitcnt vmcnt(0)
	v_mov_b32_e32 v34, v26
	v_mad_u64_u32 v[26:27], null, s6, v34, 0
	s_mul_i32 s6, s4, 0x600
	s_delay_alu instid0(VALU_DEP_1) | instskip(SKIP_4) | instid1(VALU_DEP_4)
	v_mad_u64_u32 v[32:33], null, s7, v34, v[27:28]
	v_mad_u64_u32 v[33:34], null, s4, v38, 0
	v_lshlrev_b32_e32 v70, 4, v38
	v_lshlrev_b64 v[28:29], 4, v[28:29]
	s_add_i32 s7, s15, s2
	v_mov_b32_e32 v27, v32
	v_mad_u64_u32 v[36:37], null, s5, v39, v[31:32]
	v_mov_b32_e32 v31, v34
	s_delay_alu instid0(VALU_DEP_3) | instskip(NEXT) | instid1(VALU_DEP_2)
	v_lshlrev_b64 v[26:27], 4, v[26:27]
	v_mad_u64_u32 v[34:35], null, s5, v38, v[31:32]
	s_delay_alu instid0(VALU_DEP_4) | instskip(NEXT) | instid1(VALU_DEP_3)
	v_mov_b32_e32 v31, v36
	v_add_co_u32 v91, s2, s10, v26
	s_delay_alu instid0(VALU_DEP_1) | instskip(NEXT) | instid1(VALU_DEP_3)
	v_add_co_ci_u32_e64 v92, s2, s11, v27, s2
	v_lshlrev_b64 v[26:27], 4, v[30:31]
	s_delay_alu instid0(VALU_DEP_3) | instskip(NEXT) | instid1(VALU_DEP_1)
	v_add_co_u32 v35, s2, v91, v28
	v_add_co_ci_u32_e64 v36, s2, v92, v29, s2
	v_lshlrev_b64 v[28:29], 4, v[33:34]
	s_delay_alu instid0(VALU_DEP_3) | instskip(NEXT) | instid1(VALU_DEP_1)
	v_add_co_u32 v37, s2, v35, s6
	v_add_co_ci_u32_e64 v38, s2, s7, v36, s2
	s_delay_alu instid0(VALU_DEP_2) | instskip(NEXT) | instid1(VALU_DEP_1)
	v_add_co_u32 v39, s2, v37, s6
	v_add_co_ci_u32_e64 v40, s2, s7, v38, s2
	v_add_co_u32 v26, s2, v91, v26
	s_delay_alu instid0(VALU_DEP_1) | instskip(NEXT) | instid1(VALU_DEP_4)
	v_add_co_ci_u32_e64 v27, s2, v92, v27, s2
	v_add_co_u32 v42, s2, v39, s6
	s_delay_alu instid0(VALU_DEP_1) | instskip(SKIP_1) | instid1(VALU_DEP_1)
	v_add_co_ci_u32_e64 v43, s2, s7, v40, s2
	v_add_co_u32 v66, s2, v91, v28
	v_add_co_ci_u32_e64 v67, s2, v92, v29, s2
	s_delay_alu instid0(VALU_DEP_4) | instskip(NEXT) | instid1(VALU_DEP_1)
	v_add_co_u32 v46, s2, v42, s14
	v_add_co_ci_u32_e64 v47, s2, s17, v43, s2
	global_load_b128 v[26:29], v[26:27], off
	v_add_co_u32 v50, s2, v46, s6
	s_delay_alu instid0(VALU_DEP_1) | instskip(SKIP_4) | instid1(VALU_DEP_1)
	v_add_co_ci_u32_e64 v51, s2, s7, v47, s2
	s_clause 0x1
	global_load_b128 v[30:33], v[35:36], off
	global_load_b128 v[34:37], v[37:38], off
	v_add_co_u32 v58, s2, v50, s6
	v_add_co_ci_u32_e64 v59, s2, s7, v51, s2
	s_clause 0x2
	global_load_b128 v[38:41], v[39:40], off
	global_load_b128 v[42:45], v[42:43], off
	;; [unrolled: 1-line block ×5, first 2 shown]
	v_add_co_u32 v78, s2, v58, s14
	s_delay_alu instid0(VALU_DEP_1) | instskip(SKIP_4) | instid1(VALU_DEP_1)
	v_add_co_ci_u32_e64 v79, s2, s17, v59, s2
	s_clause 0x1
	global_load_b128 v[58:61], v[62:63], off offset:1024
	global_load_b128 v[62:65], v[62:63], off offset:2560
	v_add_co_u32 v87, s2, v78, s6
	v_add_co_ci_u32_e64 v88, s2, s7, v79, s2
	v_add_co_u32 v102, s2, 0x3000, v12
	s_delay_alu instid0(VALU_DEP_1) | instskip(NEXT) | instid1(VALU_DEP_4)
	v_add_co_ci_u32_e64 v103, s2, 0, v13, s2
	v_add_co_u32 v106, s2, v87, s6
	s_delay_alu instid0(VALU_DEP_1) | instskip(SKIP_1) | instid1(VALU_DEP_1)
	v_add_co_ci_u32_e64 v107, s2, s7, v88, s2
	v_add_co_u32 v82, s2, v91, v82
	v_add_co_ci_u32_e64 v83, s2, v92, v83, s2
	v_add_co_u32 v90, s2, v91, v84
	s_delay_alu instid0(VALU_DEP_1) | instskip(SKIP_1) | instid1(VALU_DEP_1)
	v_add_co_ci_u32_e64 v91, s2, v92, v85, s2
	v_add_co_u32 v118, s2, 0x4000, v12
	v_add_co_ci_u32_e64 v119, s2, 0, v13, s2
	v_add_co_u32 v120, s2, v106, s14
	s_delay_alu instid0(VALU_DEP_1) | instskip(SKIP_4) | instid1(VALU_DEP_1)
	v_add_co_ci_u32_e64 v121, s2, s17, v107, s2
	global_load_b128 v[66:69], v[66:67], off
	global_load_b128 v[70:73], v70, s[8:9]
	global_load_b128 v[74:77], v[78:79], off
	v_add_co_u32 v122, s2, v120, s6
	v_add_co_ci_u32_e64 v123, s2, s7, v121, s2
	v_add_co_u32 v12, s2, 0x5000, v12
	global_load_b128 v[78:81], v[87:88], off
	v_add_co_ci_u32_e64 v13, s2, 0, v13, s2
	global_load_b128 v[82:85], v[82:83], off
	global_load_b128 v[86:89], v86, s[8:9]
	global_load_b128 v[90:93], v[90:91], off
	s_clause 0x2
	global_load_b128 v[94:97], v94, s[8:9]
	global_load_b128 v[98:101], v[102:103], off offset:1536
	global_load_b128 v[102:105], v[102:103], off offset:3072
	global_load_b128 v[106:109], v[106:107], off
	global_load_b128 v[110:113], v[118:119], off offset:512
	global_load_b128 v[114:117], v[120:121], off
	v_add_co_u32 v134, s2, v122, s6
	s_delay_alu instid0(VALU_DEP_1)
	v_add_co_ci_u32_e64 v135, s2, s7, v123, s2
	global_load_b128 v[118:121], v[118:119], off offset:3584
	global_load_b128 v[122:125], v[122:123], off
	s_clause 0x1
	global_load_b128 v[126:129], v[12:13], off offset:1024
	global_load_b128 v[130:133], v[12:13], off offset:2560
	global_load_b128 v[134:137], v[134:135], off
	s_waitcnt vmcnt(27)
	v_mul_f64 v[138:139], v[28:29], v[16:17]
	v_mul_f64 v[16:17], v[26:27], v[16:17]
	s_waitcnt vmcnt(26)
	v_mul_f64 v[12:13], v[32:33], v[2:3]
	v_mul_f64 v[2:3], v[30:31], v[2:3]
	s_waitcnt vmcnt(25)
	v_mul_f64 v[146:147], v[36:37], v[6:7]
	v_mul_f64 v[148:149], v[34:35], v[6:7]
	s_waitcnt vmcnt(24)
	v_mul_f64 v[150:151], v[40:41], v[10:11]
	v_mul_f64 v[152:153], v[38:39], v[10:11]
	s_waitcnt vmcnt(23)
	v_mul_f64 v[154:155], v[44:45], v[20:21]
	v_mul_f64 v[20:21], v[42:43], v[20:21]
	s_waitcnt vmcnt(22)
	v_mul_f64 v[156:157], v[48:49], v[24:25]
	v_mul_f64 v[158:159], v[46:47], v[24:25]
	s_waitcnt vmcnt(19)
	v_mul_f64 v[160:161], v[52:53], v[60:61]
	v_mul_f64 v[60:61], v[50:51], v[60:61]
	s_waitcnt vmcnt(18)
	v_mul_f64 v[162:163], v[56:57], v[64:65]
	v_mul_f64 v[64:65], v[54:55], v[64:65]
	v_fma_f64 v[10:11], v[30:31], v[0:1], v[12:13]
	s_waitcnt vmcnt(16)
	v_mul_f64 v[140:141], v[68:69], v[72:73]
	v_mul_f64 v[72:73], v[66:67], v[72:73]
	v_fma_f64 v[12:13], v[32:33], v[0:1], -v[2:3]
	v_fma_f64 v[2:3], v[28:29], v[14:15], -v[16:17]
	v_fma_f64 v[28:29], v[34:35], v[4:5], v[146:147]
	v_fma_f64 v[30:31], v[36:37], v[4:5], -v[148:149]
	v_fma_f64 v[32:33], v[38:39], v[8:9], v[150:151]
	v_fma_f64 v[34:35], v[40:41], v[8:9], -v[152:153]
	s_waitcnt vmcnt(9)
	v_mul_f64 v[164:165], v[76:77], v[100:101]
	v_mul_f64 v[100:101], v[74:75], v[100:101]
	s_waitcnt vmcnt(8)
	v_mul_f64 v[166:167], v[80:81], v[104:105]
	v_mul_f64 v[104:105], v[78:79], v[104:105]
	;; [unrolled: 3-line block ×3, first 2 shown]
	v_mul_f64 v[142:143], v[84:85], v[88:89]
	v_mul_f64 v[88:89], v[82:83], v[88:89]
	s_waitcnt vmcnt(4)
	v_mul_f64 v[170:171], v[116:117], v[120:121]
	v_mul_f64 v[120:121], v[114:115], v[120:121]
	s_waitcnt vmcnt(2)
	v_mul_f64 v[172:173], v[124:125], v[128:129]
	v_mul_f64 v[128:129], v[122:123], v[128:129]
	s_waitcnt vmcnt(0)
	v_mul_f64 v[174:175], v[136:137], v[132:133]
	v_mul_f64 v[132:133], v[134:135], v[132:133]
	;; [unrolled: 1-line block ×4, first 2 shown]
	v_fma_f64 v[36:37], v[42:43], v[18:19], v[154:155]
	v_fma_f64 v[38:39], v[44:45], v[18:19], -v[20:21]
	v_fma_f64 v[0:1], v[26:27], v[14:15], v[138:139]
	v_fma_f64 v[18:19], v[46:47], v[22:23], v[156:157]
	v_fma_f64 v[20:21], v[48:49], v[22:23], -v[158:159]
	v_fma_f64 v[40:41], v[50:51], v[58:59], v[160:161]
	v_fma_f64 v[42:43], v[52:53], v[58:59], -v[60:61]
	;; [unrolled: 2-line block ×12, first 2 shown]
	ds_store_b128 v255, v[10:13]
	ds_store_b128 v255, v[28:31] offset:1536
	ds_store_b128 v255, v[32:35] offset:3072
	;; [unrolled: 1-line block ×16, first 2 shown]
.LBB0_3:
	s_or_b32 exec_lo, exec_lo, s3
	s_clause 0x1
	s_load_b64 s[4:5], s[0:1], 0x20
	s_load_b64 s[2:3], s[0:1], 0x8
	s_waitcnt lgkmcnt(0)
	s_waitcnt_vscnt null, 0x0
	s_barrier
	buffer_gl0_inv
                                        ; implicit-def: $vgpr0_vgpr1
                                        ; implicit-def: $vgpr56_vgpr57
                                        ; implicit-def: $vgpr48_vgpr49
                                        ; implicit-def: $vgpr40_vgpr41
                                        ; implicit-def: $vgpr36_vgpr37
                                        ; implicit-def: $vgpr28_vgpr29
                                        ; implicit-def: $vgpr16_vgpr17
                                        ; implicit-def: $vgpr8_vgpr9
                                        ; implicit-def: $vgpr4_vgpr5
                                        ; implicit-def: $vgpr12_vgpr13
                                        ; implicit-def: $vgpr20_vgpr21
                                        ; implicit-def: $vgpr24_vgpr25
                                        ; implicit-def: $vgpr32_vgpr33
                                        ; implicit-def: $vgpr44_vgpr45
                                        ; implicit-def: $vgpr52_vgpr53
                                        ; implicit-def: $vgpr60_vgpr61
                                        ; implicit-def: $vgpr64_vgpr65
	s_and_saveexec_b32 s0, vcc_lo
	s_cbranch_execz .LBB0_5
; %bb.4:
	ds_load_b128 v[0:3], v255
	ds_load_b128 v[64:67], v255 offset:1536
	ds_load_b128 v[56:59], v255 offset:3072
	;; [unrolled: 1-line block ×16, first 2 shown]
.LBB0_5:
	s_or_b32 exec_lo, exec_lo, s0
	s_waitcnt lgkmcnt(0)
	v_add_f64 v[158:159], v[66:67], -v[6:7]
	v_add_f64 v[162:163], v[64:65], -v[4:5]
	s_mov_b32 s0, 0x5d8e7cdc
	s_mov_b32 s1, 0xbfd71e95
	v_add_f64 v[152:153], v[4:5], v[64:65]
	v_add_f64 v[164:165], v[6:7], v[66:67]
	v_add_f64 v[94:95], v[58:59], -v[10:11]
	v_add_f64 v[68:69], v[56:57], -v[8:9]
	s_mov_b32 s6, 0x370991
	s_mov_b32 s14, 0x2a9d6da3
	s_mov_b32 s7, 0x3fedd6d0
	s_mov_b32 s15, 0xbfe58eea
	v_add_f64 v[70:71], v[56:57], v[8:9]
	v_add_f64 v[98:99], v[58:59], v[10:11]
	v_add_f64 v[100:101], v[62:63], -v[14:15]
	v_add_f64 v[72:73], v[60:61], -v[12:13]
	s_mov_b32 s18, 0x75d4884
	s_mov_b32 s10, 0x7c9e640b
	;; [unrolled: 8-line block ×3, first 2 shown]
	s_mov_b32 s17, 0x3fdc86fa
	s_mov_b32 s27, 0xbfefdd0d
	v_add_f64 v[106:107], v[18:19], v[54:55]
	v_add_f64 v[108:109], v[50:51], -v[22:23]
	s_mov_b32 s22, 0x3259b75e
	s_mov_b32 s20, 0x923c349f
	;; [unrolled: 1-line block ×4, first 2 shown]
	v_add_f64 v[110:111], v[50:51], v[22:23]
	v_add_f64 v[116:117], v[46:47], -v[26:27]
	s_mov_b32 s24, 0xc61f0d01
	s_mov_b32 s34, 0x6c9a05f6
	v_mul_f64 v[160:161], v[158:159], s[0:1]
	v_mul_f64 v[166:167], v[162:163], s[0:1]
	s_mov_b32 s25, 0xbfd183b1
	s_mov_b32 s35, 0xbfe9895b
	v_add_f64 v[118:119], v[26:27], v[46:47]
	v_add_f64 v[120:121], v[42:43], -v[30:31]
	v_mul_f64 v[128:129], v[94:95], s[14:15]
	v_mul_f64 v[130:131], v[68:69], s[14:15]
	s_mov_b32 s30, 0x6ed5f1bb
	s_mov_b32 s28, 0x4363dd80
	;; [unrolled: 1-line block ×4, first 2 shown]
	v_add_f64 v[122:123], v[42:43], v[30:31]
	v_add_f64 v[124:125], v[38:39], -v[34:35]
	v_mul_f64 v[132:133], v[100:101], s[10:11]
	v_mul_f64 v[134:135], v[72:73], s[10:11]
	s_mov_b32 s36, 0x910ea3b9
	s_mov_b32 s40, 0xacd6c6b4
	;; [unrolled: 1-line block ×6, first 2 shown]
	v_mul_f64 v[138:139], v[76:77], s[26:27]
	v_mul_f64 v[136:137], v[104:105], s[26:27]
	s_barrier
	buffer_gl0_inv
	v_mul_f64 v[140:141], v[108:109], s[20:21]
	v_mul_f64 v[144:145], v[116:117], s[34:35]
	v_fma_f64 v[78:79], v[152:153], s[6:7], v[160:161]
	v_fma_f64 v[80:81], v[164:165], s[6:7], -v[166:167]
	v_mul_f64 v[148:149], v[120:121], s[28:29]
	v_fma_f64 v[82:83], v[70:71], s[18:19], v[128:129]
	v_fma_f64 v[84:85], v[98:99], s[18:19], -v[130:131]
	;; [unrolled: 3-line block ×3, first 2 shown]
	v_fma_f64 v[112:113], v[106:107], s[22:23], -v[138:139]
	v_add_f64 v[86:87], v[0:1], v[78:79]
	v_add_f64 v[88:89], v[2:3], v[80:81]
	;; [unrolled: 1-line block ×3, first 2 shown]
	v_add_f64 v[80:81], v[48:49], -v[20:21]
	s_delay_alu instid0(VALU_DEP_4) | instskip(NEXT) | instid1(VALU_DEP_4)
	v_add_f64 v[86:87], v[82:83], v[86:87]
	v_add_f64 v[88:89], v[84:85], v[88:89]
	v_add_f64 v[82:83], v[48:49], v[20:21]
	v_add_f64 v[84:85], v[44:45], -v[24:25]
	v_mul_f64 v[142:143], v[80:81], s[20:21]
	v_fma_f64 v[96:97], v[78:79], s[22:23], v[136:137]
	v_add_f64 v[90:91], v[90:91], v[86:87]
	v_add_f64 v[92:93], v[92:93], v[88:89]
	;; [unrolled: 1-line block ×3, first 2 shown]
	v_add_f64 v[88:89], v[40:41], -v[28:29]
	v_mul_f64 v[146:147], v[84:85], s[34:35]
	v_fma_f64 v[114:115], v[82:83], s[24:25], v[140:141]
	v_fma_f64 v[126:127], v[110:111], s[24:25], -v[142:143]
	v_add_f64 v[96:97], v[96:97], v[90:91]
	v_add_f64 v[112:113], v[112:113], v[92:93]
	;; [unrolled: 1-line block ×3, first 2 shown]
	v_add_f64 v[92:93], v[36:37], -v[32:33]
	v_mul_f64 v[150:151], v[88:89], s[28:29]
	v_fma_f64 v[168:169], v[86:87], s[30:31], v[144:145]
	v_fma_f64 v[170:171], v[118:119], s[30:31], -v[146:147]
	v_add_f64 v[114:115], v[114:115], v[96:97]
	v_add_f64 v[112:113], v[126:127], v[112:113]
	;; [unrolled: 1-line block ×4, first 2 shown]
	v_mul_f64 v[156:157], v[92:93], s[40:41]
	v_fma_f64 v[172:173], v[90:91], s[36:37], v[148:149]
	v_fma_f64 v[174:175], v[122:123], s[36:37], -v[150:151]
	v_add_f64 v[114:115], v[168:169], v[114:115]
	v_add_f64 v[112:113], v[170:171], v[112:113]
	v_fma_f64 v[168:169], v[96:97], s[38:39], v[154:155]
	v_fma_f64 v[170:171], v[126:127], s[38:39], -v[156:157]
	s_delay_alu instid0(VALU_DEP_4) | instskip(NEXT) | instid1(VALU_DEP_4)
	v_add_f64 v[114:115], v[172:173], v[114:115]
	v_add_f64 v[172:173], v[174:175], v[112:113]
	s_delay_alu instid0(VALU_DEP_2) | instskip(NEXT) | instid1(VALU_DEP_2)
	v_add_f64 v[112:113], v[168:169], v[114:115]
	v_add_f64 v[114:115], v[170:171], v[172:173]
	s_mov_b32 s33, exec_lo
	s_delay_alu instid0(SALU_CYCLE_1)
	s_and_b32 s42, s33, vcc_lo
	scratch_store_b32 off, v176, off offset:8 ; 4-byte Folded Spill
	s_mov_b32 exec_lo, s42
	s_cbranch_execz .LBB0_7
; %bb.6:
	v_add_f64 v[64:65], v[0:1], v[64:65]
	v_add_f64 v[66:67], v[2:3], v[66:67]
	s_mov_b32 s45, 0x3fe9895b
	s_mov_b32 s44, s34
	;; [unrolled: 1-line block ×16, first 2 shown]
	v_mul_f64 v[178:179], v[126:127], s[22:23]
	v_mul_f64 v[180:181], v[124:125], s[48:49]
	;; [unrolled: 1-line block ×20, first 2 shown]
	v_add_f64 v[56:57], v[56:57], v[64:65]
	v_add_f64 v[58:59], v[58:59], v[66:67]
	v_mul_f64 v[66:67], v[152:153], s[6:7]
	v_mul_f64 v[218:219], v[124:125], s[54:55]
	;; [unrolled: 1-line block ×14, first 2 shown]
	v_add_f64 v[56:57], v[60:61], v[56:57]
	v_add_f64 v[58:59], v[62:63], v[58:59]
	v_add_f64 v[66:67], v[66:67], -v[160:161]
	s_delay_alu instid0(VALU_DEP_3) | instskip(NEXT) | instid1(VALU_DEP_3)
	v_add_f64 v[52:53], v[52:53], v[56:57]
	v_add_f64 v[54:55], v[54:55], v[58:59]
	s_delay_alu instid0(VALU_DEP_2) | instskip(NEXT) | instid1(VALU_DEP_2)
	v_add_f64 v[48:49], v[48:49], v[52:53]
	v_add_f64 v[50:51], v[50:51], v[54:55]
	s_delay_alu instid0(VALU_DEP_2) | instskip(NEXT) | instid1(VALU_DEP_2)
	v_add_f64 v[44:45], v[44:45], v[48:49]
	v_add_f64 v[46:47], v[46:47], v[50:51]
	v_mul_f64 v[48:49], v[158:159], s[10:11]
	v_mul_f64 v[50:51], v[158:159], s[14:15]
	s_delay_alu instid0(VALU_DEP_4) | instskip(NEXT) | instid1(VALU_DEP_4)
	v_add_f64 v[40:41], v[40:41], v[44:45]
	v_add_f64 v[42:43], v[42:43], v[46:47]
	v_mul_f64 v[44:45], v[158:159], s[20:21]
	v_mul_f64 v[46:47], v[158:159], s[26:27]
	v_fma_f64 v[62:63], v[152:153], s[16:17], v[48:49]
	v_fma_f64 v[48:49], v[152:153], s[16:17], -v[48:49]
	v_fma_f64 v[64:65], v[152:153], s[18:19], v[50:51]
	v_fma_f64 v[50:51], v[152:153], s[18:19], -v[50:51]
	v_add_f64 v[36:37], v[36:37], v[40:41]
	v_add_f64 v[38:39], v[38:39], v[42:43]
	v_mul_f64 v[40:41], v[158:159], s[28:29]
	v_mul_f64 v[42:43], v[158:159], s[34:35]
	v_fma_f64 v[58:59], v[152:153], s[24:25], v[44:45]
	v_fma_f64 v[44:45], v[152:153], s[24:25], -v[44:45]
	v_fma_f64 v[60:61], v[152:153], s[22:23], v[46:47]
	v_fma_f64 v[46:47], v[152:153], s[22:23], -v[46:47]
	v_add_f64 v[62:63], v[0:1], v[62:63]
	v_add_f64 v[48:49], v[0:1], v[48:49]
	;; [unrolled: 1-line block ×4, first 2 shown]
	v_mul_f64 v[38:39], v[158:159], s[40:41]
	v_fma_f64 v[54:55], v[152:153], s[36:37], v[40:41]
	v_fma_f64 v[40:41], v[152:153], s[36:37], -v[40:41]
	v_fma_f64 v[56:57], v[152:153], s[30:31], v[42:43]
	v_fma_f64 v[42:43], v[152:153], s[30:31], -v[42:43]
	v_mul_f64 v[36:37], v[164:165], s[6:7]
	v_add_f64 v[58:59], v[0:1], v[58:59]
	v_add_f64 v[44:45], v[0:1], v[44:45]
	;; [unrolled: 1-line block ×6, first 2 shown]
	v_mul_f64 v[32:33], v[164:165], s[18:19]
	v_fma_f64 v[52:53], v[152:153], s[38:39], v[38:39]
	v_fma_f64 v[38:39], v[152:153], s[38:39], -v[38:39]
	v_add_f64 v[54:55], v[0:1], v[54:55]
	v_add_f64 v[40:41], v[0:1], v[40:41]
	;; [unrolled: 1-line block ×6, first 2 shown]
	v_mul_f64 v[28:29], v[164:165], s[16:17]
	v_fma_f64 v[34:35], v[162:163], s[54:55], v[32:33]
	v_fma_f64 v[32:33], v[162:163], s[14:15], v[32:33]
	v_add_f64 v[52:53], v[0:1], v[52:53]
	v_add_f64 v[38:39], v[0:1], v[38:39]
	;; [unrolled: 1-line block ×4, first 2 shown]
	v_mul_f64 v[24:25], v[164:165], s[22:23]
	v_fma_f64 v[30:31], v[162:163], s[50:51], v[28:29]
	v_fma_f64 v[28:29], v[162:163], s[10:11], v[28:29]
	v_add_f64 v[16:17], v[16:17], v[20:21]
	v_add_f64 v[18:19], v[18:19], v[22:23]
	v_mul_f64 v[20:21], v[164:165], s[24:25]
	v_fma_f64 v[26:27], v[162:163], s[48:49], v[24:25]
	v_fma_f64 v[24:25], v[162:163], s[26:27], v[24:25]
	v_add_f64 v[172:173], v[2:3], v[30:31]
	v_add_f64 v[30:31], v[0:1], v[50:51]
	;; [unrolled: 1-line block ×6, first 2 shown]
	v_mul_f64 v[16:17], v[164:165], s[30:31]
	v_fma_f64 v[22:23], v[162:163], s[56:57], v[20:21]
	v_fma_f64 v[20:21], v[162:163], s[20:21], v[20:21]
	v_add_f64 v[168:169], v[2:3], v[26:27]
	v_add_f64 v[26:27], v[0:1], v[66:67]
	;; [unrolled: 1-line block ×6, first 2 shown]
	v_mul_f64 v[12:13], v[164:165], s[36:37]
	v_fma_f64 v[18:19], v[162:163], s[44:45], v[16:17]
	v_fma_f64 v[16:17], v[162:163], s[34:35], v[16:17]
	v_add_f64 v[166:167], v[2:3], v[22:23]
	v_add_f64 v[4:5], v[4:5], v[8:9]
	v_mul_f64 v[8:9], v[164:165], s[38:39]
	v_add_f64 v[6:7], v[6:7], v[10:11]
	v_fma_f64 v[14:15], v[162:163], s[46:47], v[12:13]
	v_fma_f64 v[12:13], v[162:163], s[28:29], v[12:13]
	v_add_f64 v[160:161], v[2:3], v[18:19]
	v_add_f64 v[164:165], v[0:1], v[42:43]
	v_mul_f64 v[18:19], v[102:103], s[36:37]
	v_add_f64 v[42:43], v[2:3], v[20:21]
	v_fma_f64 v[10:11], v[162:163], s[42:43], v[8:9]
	v_fma_f64 v[8:9], v[162:163], s[40:41], v[8:9]
	v_add_f64 v[162:163], v[2:3], v[16:17]
	v_mul_f64 v[16:17], v[98:99], s[6:7]
	v_add_f64 v[158:159], v[2:3], v[12:13]
	v_add_f64 v[12:13], v[0:1], v[64:65]
	v_fma_f64 v[20:21], v[72:73], s[46:47], v[18:19]
	v_add_f64 v[152:153], v[2:3], v[14:15]
	v_add_f64 v[14:15], v[2:3], v[34:35]
	v_add_f64 v[10:11], v[2:3], v[10:11]
	v_add_f64 v[8:9], v[2:3], v[8:9]
	v_fma_f64 v[0:1], v[68:69], s[0:1], v[16:17]
	v_fma_f64 v[16:17], v[68:69], s[52:53], v[16:17]
	s_delay_alu instid0(VALU_DEP_2) | instskip(SKIP_1) | instid1(VALU_DEP_3)
	v_add_f64 v[0:1], v[0:1], v[10:11]
	v_mul_f64 v[10:11], v[94:95], s[52:53]
	v_add_f64 v[8:9], v[16:17], v[8:9]
	v_fma_f64 v[16:17], v[72:73], s[28:29], v[18:19]
	v_fma_f64 v[18:19], v[96:97], s[22:23], -v[180:181]
	v_add_f64 v[0:1], v[20:21], v[0:1]
	v_fma_f64 v[2:3], v[70:71], s[6:7], v[10:11]
	v_mul_f64 v[20:21], v[100:101], s[28:29]
	v_fma_f64 v[10:11], v[70:71], s[6:7], -v[10:11]
	v_add_f64 v[8:9], v[16:17], v[8:9]
	s_delay_alu instid0(VALU_DEP_4) | instskip(NEXT) | instid1(VALU_DEP_4)
	v_add_f64 v[2:3], v[2:3], v[52:53]
	v_fma_f64 v[22:23], v[74:75], s[36:37], v[20:21]
	s_delay_alu instid0(VALU_DEP_4) | instskip(SKIP_2) | instid1(VALU_DEP_4)
	v_add_f64 v[10:11], v[10:11], v[38:39]
	v_fma_f64 v[16:17], v[74:75], s[36:37], -v[20:21]
	v_mul_f64 v[20:21], v[98:99], s[16:17]
	v_add_f64 v[2:3], v[22:23], v[2:3]
	v_mul_f64 v[22:23], v[106:107], s[18:19]
	s_delay_alu instid0(VALU_DEP_4) | instskip(NEXT) | instid1(VALU_DEP_2)
	v_add_f64 v[10:11], v[16:17], v[10:11]
	v_fma_f64 v[32:33], v[76:77], s[14:15], v[22:23]
	v_fma_f64 v[16:17], v[76:77], s[54:55], v[22:23]
	v_mul_f64 v[22:23], v[94:95], s[50:51]
	s_delay_alu instid0(VALU_DEP_3) | instskip(SKIP_1) | instid1(VALU_DEP_4)
	v_add_f64 v[0:1], v[32:33], v[0:1]
	v_mul_f64 v[32:33], v[104:105], s[54:55]
	v_add_f64 v[8:9], v[16:17], v[8:9]
	s_delay_alu instid0(VALU_DEP_2) | instskip(SKIP_2) | instid1(VALU_DEP_3)
	v_fma_f64 v[34:35], v[78:79], s[18:19], v[32:33]
	v_fma_f64 v[16:17], v[78:79], s[18:19], -v[32:33]
	v_mul_f64 v[32:33], v[102:103], s[22:23]
	v_add_f64 v[2:3], v[34:35], v[2:3]
	v_mul_f64 v[34:35], v[110:111], s[30:31]
	s_delay_alu instid0(VALU_DEP_4) | instskip(NEXT) | instid1(VALU_DEP_2)
	v_add_f64 v[10:11], v[16:17], v[10:11]
	v_fma_f64 v[36:37], v[80:81], s[44:45], v[34:35]
	v_fma_f64 v[16:17], v[80:81], s[34:35], v[34:35]
	;; [unrolled: 1-line block ×4, first 2 shown]
	s_delay_alu instid0(VALU_DEP_4) | instskip(SKIP_2) | instid1(VALU_DEP_2)
	v_add_f64 v[0:1], v[36:37], v[0:1]
	v_mul_f64 v[36:37], v[108:109], s[34:35]
	v_add_f64 v[8:9], v[16:17], v[8:9]
	v_fma_f64 v[50:51], v[82:83], s[30:31], v[36:37]
	v_fma_f64 v[16:17], v[82:83], s[30:31], -v[36:37]
	s_delay_alu instid0(VALU_DEP_2) | instskip(SKIP_1) | instid1(VALU_DEP_3)
	v_add_f64 v[2:3], v[50:51], v[2:3]
	v_mul_f64 v[50:51], v[118:119], s[16:17]
	v_add_f64 v[10:11], v[16:17], v[10:11]
	s_delay_alu instid0(VALU_DEP_2) | instskip(SKIP_1) | instid1(VALU_DEP_2)
	v_fma_f64 v[52:53], v[84:85], s[10:11], v[50:51]
	v_fma_f64 v[16:17], v[84:85], s[50:51], v[50:51]
	v_add_f64 v[0:1], v[52:53], v[0:1]
	v_mul_f64 v[52:53], v[116:117], s[50:51]
	s_delay_alu instid0(VALU_DEP_3) | instskip(NEXT) | instid1(VALU_DEP_2)
	v_add_f64 v[8:9], v[16:17], v[8:9]
	v_fma_f64 v[64:65], v[86:87], s[16:17], v[52:53]
	v_fma_f64 v[16:17], v[86:87], s[16:17], -v[52:53]
	s_delay_alu instid0(VALU_DEP_2) | instskip(SKIP_1) | instid1(VALU_DEP_3)
	v_add_f64 v[2:3], v[64:65], v[2:3]
	v_mul_f64 v[64:65], v[122:123], s[24:25]
	v_add_f64 v[10:11], v[16:17], v[10:11]
	s_delay_alu instid0(VALU_DEP_2) | instskip(SKIP_1) | instid1(VALU_DEP_2)
	v_fma_f64 v[66:67], v[88:89], s[56:57], v[64:65]
	v_fma_f64 v[16:17], v[88:89], s[20:21], v[64:65]
	v_add_f64 v[0:1], v[66:67], v[0:1]
	v_mul_f64 v[66:67], v[120:121], s[20:21]
	s_delay_alu instid0(VALU_DEP_3) | instskip(NEXT) | instid1(VALU_DEP_2)
	v_add_f64 v[8:9], v[16:17], v[8:9]
	v_fma_f64 v[16:17], v[90:91], s[24:25], -v[66:67]
	v_fma_f64 v[176:177], v[90:91], s[24:25], v[66:67]
	s_delay_alu instid0(VALU_DEP_2) | instskip(SKIP_1) | instid1(VALU_DEP_3)
	v_add_f64 v[16:17], v[16:17], v[10:11]
	v_fma_f64 v[10:11], v[92:93], s[48:49], v[178:179]
	v_add_f64 v[176:177], v[176:177], v[2:3]
	v_fma_f64 v[2:3], v[92:93], s[26:27], v[178:179]
	v_mul_f64 v[178:179], v[126:127], s[24:25]
	s_delay_alu instid0(VALU_DEP_4)
	v_add_f64 v[10:11], v[10:11], v[8:9]
	v_add_f64 v[8:9], v[18:19], v[16:17]
	v_fma_f64 v[16:17], v[68:69], s[10:11], v[20:21]
	v_fma_f64 v[18:19], v[70:71], s[16:17], v[22:23]
	;; [unrolled: 1-line block ×3, first 2 shown]
	v_fma_f64 v[22:23], v[70:71], s[16:17], -v[22:23]
	v_add_f64 v[2:3], v[2:3], v[0:1]
	v_fma_f64 v[0:1], v[96:97], s[22:23], v[180:181]
	v_mul_f64 v[180:181], v[124:125], s[20:21]
	v_add_f64 v[16:17], v[16:17], v[152:153]
	v_add_f64 v[18:19], v[18:19], v[54:55]
	;; [unrolled: 1-line block ×4, first 2 shown]
	v_mul_f64 v[40:41], v[106:107], s[22:23]
	v_add_f64 v[0:1], v[0:1], v[176:177]
	v_mul_f64 v[158:159], v[100:101], s[42:43]
	v_add_f64 v[16:17], v[34:35], v[16:17]
	;; [unrolled: 2-line block ×3, first 2 shown]
	v_add_f64 v[40:41], v[138:139], v[40:41]
	v_mul_f64 v[138:139], v[108:109], s[46:47]
	s_delay_alu instid0(VALU_DEP_4) | instskip(SKIP_2) | instid1(VALU_DEP_3)
	v_fma_f64 v[36:37], v[74:75], s[22:23], v[34:35]
	v_fma_f64 v[32:33], v[74:75], s[22:23], -v[34:35]
	v_fma_f64 v[34:35], v[96:97], s[24:25], -v[180:181]
	v_add_f64 v[18:19], v[36:37], v[18:19]
	v_mul_f64 v[36:37], v[106:107], s[30:31]
	s_delay_alu instid0(VALU_DEP_4) | instskip(NEXT) | instid1(VALU_DEP_2)
	v_add_f64 v[22:23], v[32:33], v[22:23]
	v_fma_f64 v[38:39], v[76:77], s[34:35], v[36:37]
	v_fma_f64 v[32:33], v[76:77], s[44:45], v[36:37]
	v_mul_f64 v[36:37], v[102:103], s[16:17]
	s_delay_alu instid0(VALU_DEP_3) | instskip(SKIP_1) | instid1(VALU_DEP_4)
	v_add_f64 v[16:17], v[38:39], v[16:17]
	v_mul_f64 v[38:39], v[104:105], s[44:45]
	v_add_f64 v[20:21], v[32:33], v[20:21]
	s_delay_alu instid0(VALU_DEP_4) | instskip(SKIP_1) | instid1(VALU_DEP_4)
	v_add_f64 v[36:37], v[134:135], v[36:37]
	v_mul_f64 v[134:135], v[104:105], s[40:41]
	v_fma_f64 v[50:51], v[78:79], s[30:31], v[38:39]
	v_fma_f64 v[32:33], v[78:79], s[30:31], -v[38:39]
	v_mul_f64 v[38:39], v[74:75], s[16:17]
	s_delay_alu instid0(VALU_DEP_3) | instskip(SKIP_1) | instid1(VALU_DEP_4)
	v_add_f64 v[18:19], v[50:51], v[18:19]
	v_mul_f64 v[50:51], v[110:111], s[6:7]
	v_add_f64 v[22:23], v[32:33], v[22:23]
	s_delay_alu instid0(VALU_DEP_4) | instskip(SKIP_1) | instid1(VALU_DEP_4)
	v_add_f64 v[38:39], v[38:39], -v[132:133]
	v_mul_f64 v[132:133], v[106:107], s[38:39]
	v_fma_f64 v[52:53], v[80:81], s[52:53], v[50:51]
	v_fma_f64 v[32:33], v[80:81], s[0:1], v[50:51]
	v_mul_f64 v[50:51], v[78:79], s[22:23]
	s_delay_alu instid0(VALU_DEP_3) | instskip(SKIP_1) | instid1(VALU_DEP_4)
	v_add_f64 v[16:17], v[52:53], v[16:17]
	v_mul_f64 v[52:53], v[108:109], s[0:1]
	v_add_f64 v[20:21], v[32:33], v[20:21]
	s_delay_alu instid0(VALU_DEP_4) | instskip(SKIP_1) | instid1(VALU_DEP_4)
	v_add_f64 v[50:51], v[50:51], -v[136:137]
	v_mul_f64 v[136:137], v[110:111], s[36:37]
	v_fma_f64 v[54:55], v[82:83], s[6:7], v[52:53]
	v_fma_f64 v[32:33], v[82:83], s[6:7], -v[52:53]
	v_mul_f64 v[52:53], v[110:111], s[24:25]
	s_delay_alu instid0(VALU_DEP_3) | instskip(SKIP_1) | instid1(VALU_DEP_4)
	v_add_f64 v[18:19], v[54:55], v[18:19]
	v_mul_f64 v[54:55], v[118:119], s[38:39]
	v_add_f64 v[22:23], v[32:33], v[22:23]
	s_delay_alu instid0(VALU_DEP_4) | instskip(SKIP_1) | instid1(VALU_DEP_4)
	v_add_f64 v[52:53], v[142:143], v[52:53]
	v_mul_f64 v[142:143], v[116:117], s[56:57]
	v_fma_f64 v[64:65], v[84:85], s[42:43], v[54:55]
	v_fma_f64 v[32:33], v[84:85], s[40:41], v[54:55]
	v_mul_f64 v[54:55], v[82:83], s[24:25]
	s_delay_alu instid0(VALU_DEP_3) | instskip(SKIP_1) | instid1(VALU_DEP_4)
	v_add_f64 v[16:17], v[64:65], v[16:17]
	v_mul_f64 v[64:65], v[116:117], s[40:41]
	v_add_f64 v[20:21], v[32:33], v[20:21]
	s_delay_alu instid0(VALU_DEP_4) | instskip(SKIP_1) | instid1(VALU_DEP_4)
	v_add_f64 v[54:55], v[54:55], -v[140:141]
	v_mul_f64 v[140:141], v[118:119], s[24:25]
	v_fma_f64 v[66:67], v[86:87], s[38:39], v[64:65]
	v_fma_f64 v[32:33], v[86:87], s[38:39], -v[64:65]
	v_mul_f64 v[64:65], v[118:119], s[30:31]
	s_delay_alu instid0(VALU_DEP_3) | instskip(SKIP_1) | instid1(VALU_DEP_4)
	v_add_f64 v[18:19], v[66:67], v[18:19]
	v_mul_f64 v[66:67], v[122:123], s[18:19]
	v_add_f64 v[22:23], v[32:33], v[22:23]
	s_delay_alu instid0(VALU_DEP_4) | instskip(SKIP_1) | instid1(VALU_DEP_4)
	v_add_f64 v[64:65], v[146:147], v[64:65]
	v_mul_f64 v[146:147], v[120:121], s[50:51]
	v_fma_f64 v[152:153], v[88:89], s[14:15], v[66:67]
	v_fma_f64 v[32:33], v[88:89], s[54:55], v[66:67]
	v_mul_f64 v[66:67], v[94:95], s[26:27]
	s_delay_alu instid0(VALU_DEP_3) | instskip(SKIP_1) | instid1(VALU_DEP_4)
	v_add_f64 v[16:17], v[152:153], v[16:17]
	v_mul_f64 v[152:153], v[120:121], s[54:55]
	v_add_f64 v[20:21], v[32:33], v[20:21]
	s_delay_alu instid0(VALU_DEP_2) | instskip(SKIP_2) | instid1(VALU_DEP_3)
	v_fma_f64 v[32:33], v[90:91], s[18:19], -v[152:153]
	v_fma_f64 v[176:177], v[90:91], s[18:19], v[152:153]
	v_mul_f64 v[152:153], v[98:99], s[30:31]
	v_add_f64 v[32:33], v[32:33], v[22:23]
	v_fma_f64 v[22:23], v[92:93], s[20:21], v[178:179]
	s_delay_alu instid0(VALU_DEP_4) | instskip(SKIP_2) | instid1(VALU_DEP_4)
	v_add_f64 v[176:177], v[176:177], v[18:19]
	v_fma_f64 v[18:19], v[92:93], s[56:57], v[178:179]
	v_mul_f64 v[178:179], v[110:111], s[18:19]
	v_add_f64 v[22:23], v[22:23], v[20:21]
	v_add_f64 v[20:21], v[34:35], v[32:33]
	v_mul_f64 v[32:33], v[98:99], s[18:19]
	v_mul_f64 v[34:35], v[70:71], s[18:19]
	v_add_f64 v[18:19], v[18:19], v[16:17]
	v_fma_f64 v[16:17], v[96:97], s[24:25], v[180:181]
	v_mul_f64 v[180:181], v[108:109], s[54:55]
	v_add_f64 v[32:33], v[130:131], v[32:33]
	v_add_f64 v[34:35], v[34:35], -v[128:129]
	v_mul_f64 v[128:129], v[102:103], s[30:31]
	v_mul_f64 v[130:131], v[100:101], s[34:35]
	v_add_f64 v[16:17], v[16:17], v[176:177]
	v_mul_f64 v[176:177], v[104:105], s[56:57]
	v_add_f64 v[24:25], v[32:33], v[24:25]
	v_add_f64 v[26:27], v[34:35], v[26:27]
	v_mul_f64 v[32:33], v[86:87], s[30:31]
	v_mul_f64 v[34:35], v[122:123], s[36:37]
	s_delay_alu instid0(VALU_DEP_4) | instskip(NEXT) | instid1(VALU_DEP_4)
	v_add_f64 v[24:25], v[36:37], v[24:25]
	v_add_f64 v[26:27], v[38:39], v[26:27]
	s_delay_alu instid0(VALU_DEP_4)
	v_add_f64 v[32:33], v[32:33], -v[144:145]
	v_mul_f64 v[36:37], v[90:91], s[36:37]
	v_add_f64 v[34:35], v[150:151], v[34:35]
	v_mul_f64 v[38:39], v[126:127], s[38:39]
	v_mul_f64 v[144:145], v[122:123], s[16:17]
	;; [unrolled: 1-line block ×4, first 2 shown]
	v_add_f64 v[24:25], v[40:41], v[24:25]
	v_add_f64 v[26:27], v[50:51], v[26:27]
	v_fma_f64 v[40:41], v[72:73], s[56:57], v[196:197]
	v_add_f64 v[36:37], v[36:37], -v[148:149]
	v_mul_f64 v[148:149], v[126:127], s[6:7]
	v_add_f64 v[38:39], v[156:157], v[38:39]
	v_mul_f64 v[156:157], v[102:103], s[38:39]
	v_mul_f64 v[50:51], v[94:95], s[56:57]
	v_add_f64 v[24:25], v[52:53], v[24:25]
	v_add_f64 v[26:27], v[54:55], v[26:27]
	v_mul_f64 v[52:53], v[98:99], s[36:37]
	v_mul_f64 v[54:55], v[94:95], s[46:47]
	s_delay_alu instid0(VALU_DEP_4) | instskip(NEXT) | instid1(VALU_DEP_4)
	v_add_f64 v[24:25], v[64:65], v[24:25]
	v_add_f64 v[26:27], v[32:33], v[26:27]
	v_mul_f64 v[32:33], v[96:97], s[38:39]
	v_mul_f64 v[64:65], v[98:99], s[22:23]
	s_delay_alu instid0(VALU_DEP_4) | instskip(NEXT) | instid1(VALU_DEP_4)
	v_add_f64 v[24:25], v[34:35], v[24:25]
	v_add_f64 v[34:35], v[36:37], v[26:27]
	s_delay_alu instid0(VALU_DEP_4) | instskip(SKIP_3) | instid1(VALU_DEP_4)
	v_add_f64 v[32:33], v[32:33], -v[154:155]
	v_mul_f64 v[154:155], v[94:95], s[34:35]
	v_fma_f64 v[36:37], v[72:73], s[42:43], v[156:157]
	v_add_f64 v[26:27], v[38:39], v[24:25]
	v_add_f64 v[24:25], v[32:33], v[34:35]
	v_fma_f64 v[32:33], v[68:69], s[26:27], v[64:65]
	v_fma_f64 v[34:35], v[70:71], s[30:31], -v[154:155]
	v_fma_f64 v[64:65], v[68:69], s[48:49], v[64:65]
	s_delay_alu instid0(VALU_DEP_3) | instskip(SKIP_1) | instid1(VALU_DEP_4)
	v_add_f64 v[28:29], v[32:33], v[28:29]
	v_fma_f64 v[32:33], v[70:71], s[22:23], -v[66:67]
	v_add_f64 v[34:35], v[34:35], v[48:49]
	v_mul_f64 v[48:49], v[98:99], s[24:25]
	v_fma_f64 v[66:67], v[70:71], s[22:23], v[66:67]
	v_add_f64 v[14:15], v[64:65], v[14:15]
	v_fma_f64 v[64:65], v[74:75], s[30:31], v[130:131]
	v_add_f64 v[30:31], v[32:33], v[30:31]
	;; [unrolled: 2-line block ×3, first 2 shown]
	v_fma_f64 v[66:67], v[76:77], s[42:43], v[132:133]
	s_delay_alu instid0(VALU_DEP_3) | instskip(SKIP_1) | instid1(VALU_DEP_4)
	v_add_f64 v[28:29], v[32:33], v[28:29]
	v_fma_f64 v[32:33], v[74:75], s[30:31], -v[130:131]
	v_add_f64 v[12:13], v[64:65], v[12:13]
	v_fma_f64 v[64:65], v[80:81], s[28:29], v[136:137]
	s_delay_alu instid0(VALU_DEP_3) | instskip(SKIP_1) | instid1(VALU_DEP_1)
	v_add_f64 v[30:31], v[32:33], v[30:31]
	v_fma_f64 v[32:33], v[76:77], s[40:41], v[132:133]
	v_add_f64 v[28:29], v[32:33], v[28:29]
	v_fma_f64 v[32:33], v[78:79], s[38:39], -v[134:135]
	s_delay_alu instid0(VALU_DEP_1) | instskip(SKIP_1) | instid1(VALU_DEP_1)
	v_add_f64 v[30:31], v[32:33], v[30:31]
	v_fma_f64 v[32:33], v[80:81], s[46:47], v[136:137]
	v_add_f64 v[28:29], v[32:33], v[28:29]
	v_fma_f64 v[32:33], v[82:83], s[36:37], -v[138:139]
	s_delay_alu instid0(VALU_DEP_1) | instskip(SKIP_1) | instid1(VALU_DEP_1)
	;; [unrolled: 5-line block ×5, first 2 shown]
	v_add_f64 v[28:29], v[28:29], v[32:33]
	v_fma_f64 v[32:33], v[68:69], s[34:35], v[152:153]
	v_add_f64 v[32:33], v[32:33], v[174:175]
	v_mul_f64 v[174:175], v[106:107], s[24:25]
	s_delay_alu instid0(VALU_DEP_2) | instskip(SKIP_1) | instid1(VALU_DEP_1)
	v_add_f64 v[32:33], v[36:37], v[32:33]
	v_fma_f64 v[36:37], v[74:75], s[38:39], -v[158:159]
	v_add_f64 v[34:35], v[36:37], v[34:35]
	s_delay_alu instid0(VALU_DEP_4) | instskip(NEXT) | instid1(VALU_DEP_1)
	v_fma_f64 v[36:37], v[76:77], s[56:57], v[174:175]
	v_add_f64 v[32:33], v[36:37], v[32:33]
	v_fma_f64 v[36:37], v[78:79], s[24:25], -v[176:177]
	s_delay_alu instid0(VALU_DEP_1) | instskip(SKIP_1) | instid1(VALU_DEP_1)
	v_add_f64 v[34:35], v[36:37], v[34:35]
	v_fma_f64 v[36:37], v[80:81], s[54:55], v[178:179]
	v_add_f64 v[32:33], v[36:37], v[32:33]
	v_fma_f64 v[36:37], v[82:83], s[18:19], -v[180:181]
	s_delay_alu instid0(VALU_DEP_1) | instskip(SKIP_1) | instid1(VALU_DEP_1)
	v_add_f64 v[34:35], v[36:37], v[34:35]
	v_fma_f64 v[36:37], v[84:85], s[0:1], v[182:183]
	v_add_f64 v[32:33], v[36:37], v[32:33]
	v_fma_f64 v[36:37], v[86:87], s[6:7], -v[184:185]
	s_delay_alu instid0(VALU_DEP_1) | instskip(SKIP_1) | instid1(VALU_DEP_1)
	v_add_f64 v[34:35], v[36:37], v[34:35]
	v_fma_f64 v[36:37], v[88:89], s[26:27], v[186:187]
	v_add_f64 v[32:33], v[36:37], v[32:33]
	v_fma_f64 v[36:37], v[90:91], s[22:23], -v[188:189]
	s_delay_alu instid0(VALU_DEP_1) | instskip(SKIP_1) | instid1(VALU_DEP_1)
	v_add_f64 v[36:37], v[36:37], v[34:35]
	v_fma_f64 v[34:35], v[92:93], s[28:29], v[190:191]
	v_add_f64 v[34:35], v[34:35], v[32:33]
	v_fma_f64 v[32:33], v[96:97], s[36:37], -v[192:193]
	s_delay_alu instid0(VALU_DEP_1) | instskip(SKIP_1) | instid1(VALU_DEP_1)
	v_add_f64 v[32:33], v[32:33], v[36:37]
	v_fma_f64 v[36:37], v[68:69], s[40:41], v[194:195]
	v_add_f64 v[36:37], v[36:37], v[170:171]
	v_mul_f64 v[170:171], v[94:95], s[40:41]
	v_mul_f64 v[94:95], v[102:103], s[6:7]
	s_delay_alu instid0(VALU_DEP_3) | instskip(NEXT) | instid1(VALU_DEP_3)
	v_add_f64 v[36:37], v[40:41], v[36:37]
	v_fma_f64 v[38:39], v[70:71], s[38:39], -v[170:171]
	v_fma_f64 v[40:41], v[74:75], s[24:25], -v[198:199]
	s_delay_alu instid0(VALU_DEP_4) | instskip(NEXT) | instid1(VALU_DEP_3)
	v_fma_f64 v[98:99], v[72:73], s[0:1], v[94:95]
	v_add_f64 v[38:39], v[38:39], v[46:47]
	v_fma_f64 v[46:47], v[70:71], s[24:25], -v[50:51]
	v_fma_f64 v[50:51], v[70:71], s[24:25], v[50:51]
	s_delay_alu instid0(VALU_DEP_3) | instskip(SKIP_1) | instid1(VALU_DEP_4)
	v_add_f64 v[38:39], v[40:41], v[38:39]
	v_fma_f64 v[40:41], v[76:77], s[52:53], v[200:201]
	v_add_f64 v[46:47], v[46:47], v[164:165]
	s_delay_alu instid0(VALU_DEP_4) | instskip(SKIP_4) | instid1(VALU_DEP_1)
	v_add_f64 v[50:51], v[50:51], v[56:57]
	v_fma_f64 v[56:57], v[72:73], s[52:53], v[94:95]
	v_fma_f64 v[94:95], v[96:97], s[16:17], v[124:125]
	v_add_f64 v[36:37], v[40:41], v[36:37]
	v_fma_f64 v[40:41], v[78:79], s[6:7], -v[202:203]
	v_add_f64 v[38:39], v[40:41], v[38:39]
	v_fma_f64 v[40:41], v[80:81], s[10:11], v[204:205]
	s_delay_alu instid0(VALU_DEP_1) | instskip(SKIP_1) | instid1(VALU_DEP_1)
	v_add_f64 v[36:37], v[40:41], v[36:37]
	v_fma_f64 v[40:41], v[82:83], s[16:17], -v[206:207]
	v_add_f64 v[38:39], v[40:41], v[38:39]
	v_fma_f64 v[40:41], v[84:85], s[28:29], v[208:209]
	s_delay_alu instid0(VALU_DEP_1) | instskip(SKIP_1) | instid1(VALU_DEP_1)
	;; [unrolled: 5-line block ×4, first 2 shown]
	v_add_f64 v[38:39], v[38:39], v[36:37]
	v_fma_f64 v[36:37], v[96:97], s[18:19], -v[218:219]
	v_add_f64 v[36:37], v[36:37], v[40:41]
	v_fma_f64 v[40:41], v[68:69], s[46:47], v[52:53]
	v_fma_f64 v[52:53], v[68:69], s[28:29], v[52:53]
	s_delay_alu instid0(VALU_DEP_2) | instskip(SKIP_1) | instid1(VALU_DEP_3)
	v_add_f64 v[40:41], v[40:41], v[42:43]
	v_fma_f64 v[42:43], v[70:71], s[36:37], -v[54:55]
	v_add_f64 v[52:53], v[52:53], v[166:167]
	v_fma_f64 v[54:55], v[70:71], s[36:37], v[54:55]
	s_delay_alu instid0(VALU_DEP_3) | instskip(SKIP_1) | instid1(VALU_DEP_3)
	v_add_f64 v[42:43], v[42:43], v[44:45]
	v_fma_f64 v[44:45], v[72:73], s[54:55], v[220:221]
	v_add_f64 v[54:55], v[54:55], v[58:59]
	v_fma_f64 v[58:59], v[96:97], s[30:31], v[242:243]
	s_delay_alu instid0(VALU_DEP_3) | instskip(SKIP_1) | instid1(VALU_DEP_1)
	v_add_f64 v[40:41], v[44:45], v[40:41]
	v_fma_f64 v[44:45], v[74:75], s[18:19], -v[222:223]
	v_add_f64 v[42:43], v[44:45], v[42:43]
	v_fma_f64 v[44:45], v[76:77], s[10:11], v[224:225]
	s_delay_alu instid0(VALU_DEP_1) | instskip(SKIP_1) | instid1(VALU_DEP_1)
	v_add_f64 v[40:41], v[44:45], v[40:41]
	v_fma_f64 v[44:45], v[78:79], s[16:17], -v[226:227]
	v_add_f64 v[42:43], v[44:45], v[42:43]
	v_fma_f64 v[44:45], v[80:81], s[40:41], v[228:229]
	s_delay_alu instid0(VALU_DEP_1) | instskip(SKIP_1) | instid1(VALU_DEP_1)
	;; [unrolled: 5-line block ×5, first 2 shown]
	v_add_f64 v[42:43], v[42:43], v[40:41]
	v_fma_f64 v[40:41], v[96:97], s[30:31], -v[242:243]
	v_add_f64 v[40:41], v[40:41], v[44:45]
	v_fma_f64 v[44:45], v[68:69], s[56:57], v[48:49]
	v_fma_f64 v[48:49], v[68:69], s[20:21], v[48:49]
	s_delay_alu instid0(VALU_DEP_2) | instskip(NEXT) | instid1(VALU_DEP_2)
	v_add_f64 v[44:45], v[44:45], v[162:163]
	v_add_f64 v[48:49], v[48:49], v[160:161]
	s_delay_alu instid0(VALU_DEP_2) | instskip(SKIP_1) | instid1(VALU_DEP_3)
	v_add_f64 v[44:45], v[98:99], v[44:45]
	v_mul_f64 v[98:99], v[100:101], s[0:1]
	v_add_f64 v[48:49], v[56:57], v[48:49]
	s_delay_alu instid0(VALU_DEP_2) | instskip(SKIP_2) | instid1(VALU_DEP_3)
	v_fma_f64 v[100:101], v[74:75], s[6:7], -v[98:99]
	v_fma_f64 v[56:57], v[74:75], s[6:7], v[98:99]
	v_fma_f64 v[98:99], v[96:97], s[36:37], v[192:193]
	v_add_f64 v[46:47], v[100:101], v[46:47]
	v_mul_f64 v[100:101], v[106:107], s[36:37]
	s_delay_alu instid0(VALU_DEP_4) | instskip(NEXT) | instid1(VALU_DEP_2)
	v_add_f64 v[50:51], v[56:57], v[50:51]
	v_fma_f64 v[102:103], v[76:77], s[28:29], v[100:101]
	v_fma_f64 v[56:57], v[76:77], s[46:47], v[100:101]
	s_delay_alu instid0(VALU_DEP_2) | instskip(SKIP_1) | instid1(VALU_DEP_3)
	v_add_f64 v[44:45], v[102:103], v[44:45]
	v_mul_f64 v[102:103], v[104:105], s[28:29]
	v_add_f64 v[48:49], v[56:57], v[48:49]
	s_delay_alu instid0(VALU_DEP_2) | instskip(SKIP_1) | instid1(VALU_DEP_2)
	v_fma_f64 v[104:105], v[78:79], s[36:37], -v[102:103]
	v_fma_f64 v[56:57], v[78:79], s[36:37], v[102:103]
	v_add_f64 v[46:47], v[104:105], v[46:47]
	v_mul_f64 v[104:105], v[110:111], s[22:23]
	s_delay_alu instid0(VALU_DEP_3) | instskip(NEXT) | instid1(VALU_DEP_2)
	v_add_f64 v[50:51], v[56:57], v[50:51]
	v_fma_f64 v[106:107], v[80:81], s[48:49], v[104:105]
	v_fma_f64 v[56:57], v[80:81], s[26:27], v[104:105]
	s_delay_alu instid0(VALU_DEP_2) | instskip(SKIP_1) | instid1(VALU_DEP_3)
	v_add_f64 v[44:45], v[106:107], v[44:45]
	v_mul_f64 v[106:107], v[108:109], s[48:49]
	v_add_f64 v[48:49], v[56:57], v[48:49]
	s_delay_alu instid0(VALU_DEP_2) | instskip(SKIP_1) | instid1(VALU_DEP_2)
	v_fma_f64 v[108:109], v[82:83], s[22:23], -v[106:107]
	v_fma_f64 v[56:57], v[82:83], s[22:23], v[106:107]
	v_add_f64 v[46:47], v[108:109], v[46:47]
	v_mul_f64 v[108:109], v[118:119], s[18:19]
	s_delay_alu instid0(VALU_DEP_3) | instskip(NEXT) | instid1(VALU_DEP_2)
	v_add_f64 v[50:51], v[56:57], v[50:51]
	v_fma_f64 v[110:111], v[84:85], s[14:15], v[108:109]
	v_fma_f64 v[56:57], v[84:85], s[54:55], v[108:109]
	s_delay_alu instid0(VALU_DEP_2) | instskip(SKIP_1) | instid1(VALU_DEP_3)
	v_add_f64 v[44:45], v[110:111], v[44:45]
	v_mul_f64 v[110:111], v[116:117], s[14:15]
	v_add_f64 v[48:49], v[56:57], v[48:49]
	s_delay_alu instid0(VALU_DEP_2) | instskip(SKIP_1) | instid1(VALU_DEP_2)
	v_fma_f64 v[116:117], v[86:87], s[18:19], -v[110:111]
	v_fma_f64 v[56:57], v[86:87], s[18:19], v[110:111]
	v_add_f64 v[46:47], v[116:117], v[46:47]
	v_mul_f64 v[116:117], v[122:123], s[38:39]
	s_delay_alu instid0(VALU_DEP_3) | instskip(SKIP_1) | instid1(VALU_DEP_3)
	v_add_f64 v[50:51], v[56:57], v[50:51]
	v_mul_f64 v[122:123], v[126:127], s[16:17]
	v_fma_f64 v[118:119], v[88:89], s[40:41], v[116:117]
	v_fma_f64 v[56:57], v[88:89], s[42:43], v[116:117]
	s_delay_alu instid0(VALU_DEP_2) | instskip(SKIP_1) | instid1(VALU_DEP_3)
	v_add_f64 v[44:45], v[118:119], v[44:45]
	v_mul_f64 v[118:119], v[120:121], s[40:41]
	v_add_f64 v[48:49], v[56:57], v[48:49]
	s_delay_alu instid0(VALU_DEP_2) | instskip(SKIP_1) | instid1(VALU_DEP_2)
	v_fma_f64 v[56:57], v[90:91], s[38:39], v[118:119]
	v_fma_f64 v[120:121], v[90:91], s[38:39], -v[118:119]
	v_add_f64 v[56:57], v[56:57], v[50:51]
	v_fma_f64 v[50:51], v[92:93], s[10:11], v[122:123]
	s_delay_alu instid0(VALU_DEP_3) | instskip(SKIP_1) | instid1(VALU_DEP_3)
	v_add_f64 v[120:121], v[120:121], v[46:47]
	v_fma_f64 v[46:47], v[92:93], s[50:51], v[122:123]
	v_add_f64 v[50:51], v[50:51], v[48:49]
	v_add_f64 v[48:49], v[94:95], v[56:57]
	v_fma_f64 v[56:57], v[72:73], s[14:15], v[220:221]
	v_fma_f64 v[94:95], v[96:97], s[18:19], v[218:219]
	v_add_f64 v[46:47], v[46:47], v[44:45]
	v_fma_f64 v[44:45], v[96:97], s[16:17], -v[124:125]
	s_delay_alu instid0(VALU_DEP_4) | instskip(SKIP_1) | instid1(VALU_DEP_3)
	v_add_f64 v[52:53], v[56:57], v[52:53]
	v_fma_f64 v[56:57], v[74:75], s[18:19], v[222:223]
	v_add_f64 v[44:45], v[44:45], v[120:121]
	s_delay_alu instid0(VALU_DEP_2) | instskip(SKIP_1) | instid1(VALU_DEP_1)
	v_add_f64 v[54:55], v[56:57], v[54:55]
	v_fma_f64 v[56:57], v[76:77], s[50:51], v[224:225]
	v_add_f64 v[52:53], v[56:57], v[52:53]
	v_fma_f64 v[56:57], v[78:79], s[16:17], v[226:227]
	s_delay_alu instid0(VALU_DEP_1) | instskip(SKIP_1) | instid1(VALU_DEP_1)
	v_add_f64 v[54:55], v[56:57], v[54:55]
	v_fma_f64 v[56:57], v[80:81], s[42:43], v[228:229]
	v_add_f64 v[52:53], v[56:57], v[52:53]
	v_fma_f64 v[56:57], v[82:83], s[38:39], v[230:231]
	s_delay_alu instid0(VALU_DEP_1) | instskip(SKIP_1) | instid1(VALU_DEP_1)
	;; [unrolled: 5-line block ×4, first 2 shown]
	v_add_f64 v[56:57], v[56:57], v[54:55]
	v_fma_f64 v[54:55], v[92:93], s[44:45], v[240:241]
	v_add_f64 v[54:55], v[54:55], v[52:53]
	s_delay_alu instid0(VALU_DEP_3) | instskip(SKIP_2) | instid1(VALU_DEP_2)
	v_add_f64 v[52:53], v[58:59], v[56:57]
	v_fma_f64 v[56:57], v[68:69], s[42:43], v[194:195]
	v_fma_f64 v[58:59], v[70:71], s[38:39], v[170:171]
	v_add_f64 v[56:57], v[56:57], v[168:169]
	s_delay_alu instid0(VALU_DEP_2) | instskip(SKIP_1) | instid1(VALU_DEP_1)
	v_add_f64 v[58:59], v[58:59], v[60:61]
	v_fma_f64 v[60:61], v[72:73], s[20:21], v[196:197]
	v_add_f64 v[56:57], v[60:61], v[56:57]
	v_fma_f64 v[60:61], v[74:75], s[24:25], v[198:199]
	s_delay_alu instid0(VALU_DEP_1) | instskip(SKIP_1) | instid1(VALU_DEP_1)
	v_add_f64 v[58:59], v[60:61], v[58:59]
	v_fma_f64 v[60:61], v[76:77], s[0:1], v[200:201]
	v_add_f64 v[56:57], v[60:61], v[56:57]
	v_fma_f64 v[60:61], v[78:79], s[6:7], v[202:203]
	s_delay_alu instid0(VALU_DEP_1) | instskip(SKIP_1) | instid1(VALU_DEP_1)
	v_add_f64 v[58:59], v[60:61], v[58:59]
	v_fma_f64 v[60:61], v[80:81], s[50:51], v[204:205]
	v_add_f64 v[56:57], v[60:61], v[56:57]
	v_fma_f64 v[60:61], v[82:83], s[16:17], v[206:207]
	s_delay_alu instid0(VALU_DEP_1) | instskip(SKIP_1) | instid1(VALU_DEP_1)
	v_add_f64 v[58:59], v[60:61], v[58:59]
	v_fma_f64 v[60:61], v[84:85], s[46:47], v[208:209]
	v_add_f64 v[56:57], v[60:61], v[56:57]
	v_fma_f64 v[60:61], v[86:87], s[36:37], v[210:211]
	s_delay_alu instid0(VALU_DEP_1) | instskip(SKIP_1) | instid1(VALU_DEP_1)
	v_add_f64 v[58:59], v[60:61], v[58:59]
	v_fma_f64 v[60:61], v[88:89], s[34:35], v[212:213]
	v_add_f64 v[56:57], v[60:61], v[56:57]
	v_fma_f64 v[60:61], v[90:91], s[30:31], v[214:215]
	s_delay_alu instid0(VALU_DEP_1) | instskip(SKIP_1) | instid1(VALU_DEP_1)
	v_add_f64 v[60:61], v[60:61], v[58:59]
	v_fma_f64 v[58:59], v[92:93], s[14:15], v[216:217]
	v_add_f64 v[58:59], v[58:59], v[56:57]
	s_delay_alu instid0(VALU_DEP_3) | instskip(SKIP_3) | instid1(VALU_DEP_3)
	v_add_f64 v[56:57], v[94:95], v[60:61]
	v_fma_f64 v[60:61], v[68:69], s[44:45], v[152:153]
	v_fma_f64 v[94:95], v[70:71], s[30:31], v[154:155]
	v_fma_f64 v[68:69], v[72:73], s[44:45], v[128:129]
	v_add_f64 v[60:61], v[60:61], v[172:173]
	s_delay_alu instid0(VALU_DEP_3) | instskip(SKIP_1) | instid1(VALU_DEP_4)
	v_add_f64 v[62:63], v[94:95], v[62:63]
	v_fma_f64 v[94:95], v[72:73], s[40:41], v[156:157]
	v_add_f64 v[14:15], v[68:69], v[14:15]
	v_fma_f64 v[68:69], v[78:79], s[38:39], v[134:135]
	s_delay_alu instid0(VALU_DEP_3) | instskip(SKIP_1) | instid1(VALU_DEP_4)
	v_add_f64 v[60:61], v[94:95], v[60:61]
	v_fma_f64 v[94:95], v[74:75], s[38:39], v[158:159]
	v_add_f64 v[14:15], v[66:67], v[14:15]
	v_fma_f64 v[66:67], v[82:83], s[36:37], v[138:139]
	v_add_f64 v[12:13], v[68:69], v[12:13]
	v_fma_f64 v[68:69], v[84:85], s[20:21], v[140:141]
	v_add_f64 v[62:63], v[94:95], v[62:63]
	v_fma_f64 v[94:95], v[76:77], s[20:21], v[174:175]
	v_add_f64 v[14:15], v[64:65], v[14:15]
	v_fma_f64 v[64:65], v[86:87], s[24:25], v[142:143]
	v_add_f64 v[12:13], v[66:67], v[12:13]
	v_fma_f64 v[66:67], v[88:89], s[10:11], v[144:145]
	v_add_f64 v[60:61], v[94:95], v[60:61]
	v_fma_f64 v[94:95], v[78:79], s[24:25], v[176:177]
	scratch_load_b32 v176, off, off offset:8 ; 4-byte Folded Reload
	v_add_f64 v[14:15], v[68:69], v[14:15]
	v_fma_f64 v[68:69], v[90:91], s[16:17], v[146:147]
	v_add_f64 v[12:13], v[64:65], v[12:13]
	v_fma_f64 v[64:65], v[92:93], s[0:1], v[148:149]
	;; [unrolled: 2-line block ×4, first 2 shown]
	v_add_f64 v[12:13], v[68:69], v[12:13]
	s_delay_alu instid0(VALU_DEP_4) | instskip(SKIP_2) | instid1(VALU_DEP_4)
	v_add_f64 v[60:61], v[94:95], v[60:61]
	v_fma_f64 v[94:95], v[82:83], s[18:19], v[180:181]
	v_add_f64 v[14:15], v[64:65], v[14:15]
	v_add_f64 v[12:13], v[66:67], v[12:13]
	s_delay_alu instid0(VALU_DEP_3) | instskip(SKIP_1) | instid1(VALU_DEP_1)
	v_add_f64 v[62:63], v[94:95], v[62:63]
	v_fma_f64 v[94:95], v[84:85], s[52:53], v[182:183]
	v_add_f64 v[60:61], v[94:95], v[60:61]
	v_fma_f64 v[94:95], v[86:87], s[6:7], v[184:185]
	s_delay_alu instid0(VALU_DEP_1) | instskip(SKIP_1) | instid1(VALU_DEP_1)
	v_add_f64 v[62:63], v[94:95], v[62:63]
	v_fma_f64 v[94:95], v[88:89], s[48:49], v[186:187]
	v_add_f64 v[60:61], v[94:95], v[60:61]
	v_fma_f64 v[94:95], v[90:91], s[22:23], v[188:189]
	s_delay_alu instid0(VALU_DEP_1) | instskip(SKIP_1) | instid1(VALU_DEP_1)
	v_add_f64 v[94:95], v[94:95], v[62:63]
	v_fma_f64 v[62:63], v[92:93], s[46:47], v[190:191]
	v_add_f64 v[62:63], v[62:63], v[60:61]
	s_delay_alu instid0(VALU_DEP_3) | instskip(SKIP_2) | instid1(VALU_DEP_1)
	v_add_f64 v[60:61], v[98:99], v[94:95]
	s_waitcnt vmcnt(0)
	v_mul_lo_u16 v64, v176, 17
	v_and_b32_e32 v64, 0xffff, v64
	s_delay_alu instid0(VALU_DEP_1)
	v_lshlrev_b32_e32 v64, 4, v64
	ds_store_b128 v64, v[4:7]
	ds_store_b128 v64, v[24:27] offset:16
	ds_store_b128 v64, v[28:31] offset:32
	;; [unrolled: 1-line block ×16, first 2 shown]
.LBB0_7:
	s_or_b32 exec_lo, exec_lo, s33
	v_add_nc_u16 v5, v176, 0x66
	v_and_b32_e32 v0, 0xff, v176
	v_add_co_u32 v3, null, 0xcc, v176
	v_add_co_u32 v4, null, 0x132, v176
	s_delay_alu instid0(VALU_DEP_4) | instskip(NEXT) | instid1(VALU_DEP_4)
	v_and_b32_e32 v6, 0xff, v5
	v_mul_lo_u16 v28, 0xf1, v0
	s_delay_alu instid0(VALU_DEP_4) | instskip(SKIP_1) | instid1(VALU_DEP_4)
	v_and_b32_e32 v0, 0xffff, v3
	v_add_co_u32 v2, null, 0x198, v176
	v_mul_lo_u16 v27, 0xf1, v6
	s_delay_alu instid0(VALU_DEP_4) | instskip(NEXT) | instid1(VALU_DEP_4)
	v_lshrrev_b16 v29, 12, v28
	v_mul_u32_u24_e32 v7, 0xf0f1, v0
	v_and_b32_e32 v17, 0xffff, v4
	v_add_co_u32 v14, null, 0x264, v176
	v_lshrrev_b16 v16, 12, v27
	v_mul_lo_u16 v0, v29, 17
	v_lshrrev_b32_e32 v1, 20, v7
	v_add_co_u32 v15, null, 0x2ca, v176
	s_delay_alu instid0(VALU_DEP_4) | instskip(NEXT) | instid1(VALU_DEP_4)
	v_mul_lo_u16 v8, v16, 17
	v_sub_nc_u16 v0, v176, v0
	s_delay_alu instid0(VALU_DEP_4)
	v_mul_lo_u16 v9, v1, 17
	v_and_b32_e32 v18, 0xffff, v2
	s_load_b128 s[4:7], s[4:5], 0x0
	v_sub_nc_u16 v8, v5, v8
	v_and_b32_e32 v12, 0xff, v0
	v_sub_nc_u16 v13, v3, v9
	s_waitcnt lgkmcnt(0)
	s_waitcnt_vscnt null, 0x0
	s_barrier
	v_and_b32_e32 v0, 0xff, v8
	v_add_nc_u16 v8, v176, 0x1fe
	v_lshlrev_b32_e32 v10, 4, v12
	v_and_b32_e32 v9, 0xffff, v13
	buffer_gl0_inv
	v_lshlrev_b32_e32 v11, 4, v0
	v_and_b32_e32 v19, 0xffff, v14
	s_clause 0x1
	global_load_b128 v[108:111], v10, s[2:3]
	global_load_b128 v[104:107], v11, s[2:3]
	v_mul_u32_u24_e32 v10, 0xf0f1, v17
	v_and_b32_e32 v11, 0xffff, v8
	v_lshlrev_b32_e32 v32, 4, v9
	v_mul_u32_u24_e32 v9, 0xf0f1, v18
	v_and_b32_e32 v20, 0xffff, v15
	v_lshrrev_b32_e32 v17, 20, v10
	v_mul_u32_u24_e32 v11, 0xf0f1, v11
	v_mul_u32_u24_e32 v31, 0xf0f1, v19
	v_lshrrev_b32_e32 v18, 20, v9
	v_mul_u32_u24_e32 v30, 0xf0f1, v20
	v_mul_lo_u16 v22, v17, 17
	v_lshrrev_b32_e32 v19, 20, v11
	v_lshrrev_b32_e32 v20, 20, v31
	v_mul_lo_u16 v23, v18, 17
	v_lshrrev_b32_e32 v21, 20, v30
	v_sub_nc_u16 v22, v4, v22
	v_mul_lo_u16 v24, v19, 17
	v_mul_lo_u16 v25, v20, 17
	v_sub_nc_u16 v23, v2, v23
	v_mul_lo_u16 v26, v21, 17
	v_and_b32_e32 v33, 0xffff, v22
	v_sub_nc_u16 v24, v8, v24
	v_sub_nc_u16 v25, v14, v25
	v_and_b32_e32 v34, 0xffff, v23
	v_sub_nc_u16 v26, v15, v26
	v_lshlrev_b32_e32 v33, 4, v33
	v_and_b32_e32 v35, 0xffff, v24
	v_and_b32_e32 v36, 0xffff, v25
	v_lshlrev_b32_e32 v34, 4, v34
	v_and_b32_e32 v37, 0xffff, v26
	s_clause 0x1
	global_load_b128 v[124:127], v32, s[2:3]
	global_load_b128 v[128:131], v33, s[2:3]
	v_lshlrev_b32_e32 v32, 4, v35
	v_lshlrev_b32_e32 v33, 4, v36
	global_load_b128 v[132:135], v34, s[2:3]
	v_lshlrev_b32_e32 v34, 4, v37
	s_clause 0x2
	global_load_b128 v[136:139], v32, s[2:3]
	global_load_b128 v[120:123], v33, s[2:3]
	global_load_b128 v[116:119], v34, s[2:3]
	v_and_b32_e32 v32, 0xffff, v176
	v_and_b32_e32 v16, 0xffff, v16
	v_mad_u16 v1, v1, 34, v13
	v_mad_u16 v24, v19, 34, v24
	v_mad_u16 v25, v20, 34, v25
	v_lshlrev_b32_e32 v244, 4, v32
	ds_load_b128 v[40:43], v244 offset:13056
	ds_load_b128 v[44:47], v244 offset:14688
	;; [unrolled: 1-line block ×8, first 2 shown]
	ds_load_b128 v[36:39], v244
	ds_load_b128 v[32:35], v244 offset:1632
	v_mad_u16 v26, v21, 34, v26
	v_and_b32_e32 v24, 0xffff, v24
	v_and_b32_e32 v25, 0xffff, v25
	v_cmp_gt_u16_e64 s0, 34, v176
                                        ; implicit-def: $vgpr140_vgpr141
	s_delay_alu instid0(VALU_DEP_4) | instskip(NEXT) | instid1(VALU_DEP_4)
	v_and_b32_e32 v26, 0xffff, v26
	v_lshlrev_b32_e32 v24, 4, v24
	s_waitcnt vmcnt(7) lgkmcnt(9)
	v_mul_f64 v[72:73], v[42:43], v[110:111]
	v_mul_f64 v[74:75], v[40:41], v[110:111]
	s_waitcnt vmcnt(6) lgkmcnt(8)
	v_mul_f64 v[76:77], v[46:47], v[106:107]
	v_mul_f64 v[78:79], v[44:45], v[106:107]
	s_clause 0x1
	scratch_store_b128 off, v[108:111], off offset:28
	scratch_store_b128 off, v[104:107], off offset:12
	v_lshrrev_b32_e32 v110, 21, v31
	v_lshrrev_b32_e32 v111, 21, v30
	;; [unrolled: 1-line block ×4, first 2 shown]
	s_waitcnt vmcnt(5) lgkmcnt(7)
	v_mul_f64 v[80:81], v[50:51], v[126:127]
	v_mul_f64 v[82:83], v[48:49], v[126:127]
	s_waitcnt vmcnt(4) lgkmcnt(6)
	v_mul_f64 v[84:85], v[54:55], v[130:131]
	v_mul_f64 v[86:87], v[52:53], v[130:131]
	;; [unrolled: 3-line block ×6, first 2 shown]
	v_fma_f64 v[72:73], v[40:41], v[108:109], -v[72:73]
	v_fma_f64 v[74:75], v[42:43], v[108:109], v[74:75]
	v_fma_f64 v[76:77], v[44:45], v[104:105], -v[76:77]
	v_fma_f64 v[78:79], v[46:47], v[104:105], v[78:79]
	s_clause 0x5
	scratch_store_b128 off, v[124:127], off offset:76
	scratch_store_b128 off, v[128:131], off offset:92
	;; [unrolled: 1-line block ×6, first 2 shown]
	ds_load_b128 v[44:47], v244 offset:3264
	ds_load_b128 v[40:43], v244 offset:4896
	v_lshrrev_b16 v104, 13, v28
	v_mul_lo_u16 v28, v29, 34
	v_lshrrev_b16 v105, 13, v27
	v_lshrrev_b32_e32 v109, 21, v11
	v_lshrrev_b32_e32 v108, 21, v9
	v_mul_lo_u16 v29, v104, 34
	v_and_b32_e32 v31, 0xfe, v28
	v_mul_lo_u16 v119, v107, 34
	v_mul_lo_u16 v118, v106, 34
	s_delay_alu instid0(VALU_DEP_2) | instskip(NEXT) | instid1(VALU_DEP_2)
	v_sub_nc_u16 v123, v4, v119
	v_sub_nc_u16 v122, v3, v118
	v_fma_f64 v[80:81], v[48:49], v[124:125], -v[80:81]
	v_fma_f64 v[82:83], v[50:51], v[124:125], v[82:83]
	v_fma_f64 v[84:85], v[52:53], v[128:129], -v[84:85]
	v_fma_f64 v[86:87], v[54:55], v[128:129], v[86:87]
	;; [unrolled: 2-line block ×6, first 2 shown]
	ds_load_b128 v[48:51], v244 offset:6528
	ds_load_b128 v[52:55], v244 offset:8160
	;; [unrolled: 1-line block ×4, first 2 shown]
	v_sub_nc_u16 v116, v176, v29
	s_waitcnt lgkmcnt(7)
	v_add_f64 v[27:28], v[36:37], -v[72:73]
	v_add_f64 v[29:30], v[38:39], -v[74:75]
	s_waitcnt lgkmcnt(6)
	v_add_f64 v[64:65], v[32:33], -v[76:77]
	v_add_f64 v[66:67], v[34:35], -v[78:79]
	v_mul_lo_u16 v117, v105, 34
	v_mul_lo_u16 v120, v108, 34
	v_and_b32_e32 v121, 0xff, v116
	s_waitcnt lgkmcnt(0)
	s_waitcnt_vscnt null, 0x0
	s_barrier
	buffer_gl0_inv
	v_sub_nc_u16 v120, v2, v120
	v_add_f64 v[68:69], v[44:45], -v[80:81]
	v_add_f64 v[70:71], v[46:47], -v[82:83]
	;; [unrolled: 1-line block ×12, first 2 shown]
	v_mul_lo_u16 v93, v110, 34
	v_mul_lo_u16 v94, v111, 34
	v_mul_lo_u16 v92, v109, 34
	v_mul_u32_u24_e32 v95, 34, v16
	v_sub_nc_u16 v16, v5, v117
	v_sub_nc_u16 v125, v14, v93
	;; [unrolled: 1-line block ×3, first 2 shown]
	v_add_lshl_u32 v97, v31, v12, 4
	v_fma_f64 v[12:13], v[36:37], 2.0, -v[27:28]
	v_fma_f64 v[14:15], v[38:39], 2.0, -v[29:30]
	v_sub_nc_u16 v124, v8, v92
	v_mad_u16 v92, v17, 34, v22
	v_mad_u16 v93, v18, 34, v23
	v_and_b32_e32 v127, 0xff, v16
	v_fma_f64 v[16:17], v[32:33], 2.0, -v[64:65]
	v_fma_f64 v[18:19], v[34:35], 2.0, -v[66:67]
	v_and_b32_e32 v96, 0xffff, v122
	v_lshlrev_b32_e32 v94, 4, v121
	scratch_store_b32 off, v97, off offset:312 ; 4-byte Folded Spill
	v_fma_f64 v[20:21], v[44:45], 2.0, -v[68:69]
	v_fma_f64 v[22:23], v[46:47], 2.0, -v[70:71]
	;; [unrolled: 1-line block ×12, first 2 shown]
	v_add_lshl_u32 v60, v95, v0, 4
	v_and_b32_e32 v0, 0xffff, v1
	v_and_b32_e32 v1, 0xffff, v92
	;; [unrolled: 1-line block ×5, first 2 shown]
	v_lshlrev_b32_e32 v61, 4, v0
	v_lshlrev_b32_e32 v59, 4, v1
	;; [unrolled: 1-line block ×5, first 2 shown]
	v_and_b32_e32 v53, 0xffff, v124
	v_and_b32_e32 v54, 0xffff, v125
	ds_store_b128 v97, v[12:15]
	ds_store_b128 v97, v[27:30] offset:272
	ds_store_b128 v60, v[16:19]
	scratch_store_b32 off, v60, off offset:324 ; 4-byte Folded Spill
	ds_store_b128 v60, v[64:67] offset:272
	ds_store_b128 v61, v[20:23]
	scratch_store_b32 off, v61, off offset:328 ; 4-byte Folded Spill
	;; [unrolled: 3-line block ×7, first 2 shown]
	ds_store_b128 v0, v[88:91] offset:272
	v_lshlrev_b32_e32 v0, 4, v51
	v_lshlrev_b32_e32 v1, 4, v52
	v_and_b32_e32 v55, 0xffff, v126
	v_lshlrev_b32_e32 v57, 4, v127
	v_lshlrev_b32_e32 v58, 4, v96
	;; [unrolled: 1-line block ×3, first 2 shown]
	s_waitcnt lgkmcnt(0)
	s_waitcnt_vscnt null, 0x0
	s_barrier
	buffer_gl0_inv
	s_clause 0x2
	global_load_b128 v[60:63], v94, s[2:3] offset:272
	global_load_b128 v[94:97], v0, s[2:3] offset:272
	;; [unrolled: 1-line block ×3, first 2 shown]
	v_lshlrev_b32_e32 v0, 4, v54
	v_lshlrev_b32_e32 v1, 4, v55
	s_clause 0x4
	global_load_b128 v[86:89], v57, s[2:3] offset:272
	global_load_b128 v[90:93], v58, s[2:3] offset:272
	;; [unrolled: 1-line block ×5, first 2 shown]
	ds_load_b128 v[12:15], v244 offset:13056
	ds_load_b128 v[16:19], v244 offset:14688
	ds_load_b128 v[20:23], v244 offset:16320
	ds_load_b128 v[24:27], v244 offset:17952
	ds_load_b128 v[28:31], v244 offset:19584
	ds_load_b128 v[32:35], v244 offset:21216
	ds_load_b128 v[36:39], v244 offset:22848
	ds_load_b128 v[64:67], v244 offset:24480
	s_waitcnt vmcnt(7) lgkmcnt(7)
	v_mul_f64 v[0:1], v[14:15], v[62:63]
	v_mul_f64 v[40:41], v[12:13], v[62:63]
	s_waitcnt vmcnt(6) lgkmcnt(4)
	v_mul_f64 v[50:51], v[26:27], v[96:97]
	v_mul_f64 v[68:69], v[24:25], v[96:97]
	s_waitcnt vmcnt(5) lgkmcnt(3)
	v_mul_f64 v[70:71], v[30:31], v[100:101]
	s_waitcnt vmcnt(4)
	v_mul_f64 v[42:43], v[18:19], v[88:89]
	v_mul_f64 v[44:45], v[16:17], v[88:89]
	s_waitcnt vmcnt(3)
	v_mul_f64 v[46:47], v[22:23], v[92:93]
	v_mul_f64 v[48:49], v[20:21], v[92:93]
	;; [unrolled: 1-line block ×3, first 2 shown]
	s_waitcnt vmcnt(2) lgkmcnt(2)
	v_mul_f64 v[74:75], v[34:35], v[118:119]
	v_mul_f64 v[76:77], v[32:33], v[118:119]
	s_waitcnt vmcnt(1) lgkmcnt(1)
	v_mul_f64 v[78:79], v[38:39], v[58:59]
	v_mul_f64 v[80:81], v[36:37], v[58:59]
	;; [unrolled: 3-line block ×3, first 2 shown]
	s_clause 0x7
	scratch_store_b128 off, v[60:63], off offset:172
	scratch_store_b128 off, v[86:89], off offset:188
	scratch_store_b128 off, v[90:93], off offset:204
	scratch_store_b128 off, v[94:97], off offset:220
	scratch_store_b128 off, v[98:101], off offset:236
	scratch_store_b128 off, v[116:119], off offset:252
	scratch_store_b128 off, v[56:59], off offset:156
	scratch_store_b128 off, v[52:55], off offset:140
	v_fma_f64 v[0:1], v[12:13], v[60:61], -v[0:1]
	v_fma_f64 v[40:41], v[14:15], v[60:61], v[40:41]
	v_fma_f64 v[50:51], v[24:25], v[94:95], -v[50:51]
	v_fma_f64 v[88:89], v[28:29], v[98:99], -v[70:71]
	;; [unrolled: 1-line block ×3, first 2 shown]
	v_fma_f64 v[44:45], v[18:19], v[86:87], v[44:45]
	v_fma_f64 v[46:47], v[20:21], v[90:91], -v[46:47]
	v_fma_f64 v[48:49], v[22:23], v[90:91], v[48:49]
	v_fma_f64 v[86:87], v[26:27], v[94:95], v[68:69]
	;; [unrolled: 1-line block ×3, first 2 shown]
	v_fma_f64 v[92:93], v[32:33], v[116:117], -v[74:75]
	v_fma_f64 v[94:95], v[34:35], v[116:117], v[76:77]
	v_fma_f64 v[96:97], v[36:37], v[56:57], -v[78:79]
	v_fma_f64 v[98:99], v[38:39], v[56:57], v[80:81]
	v_fma_f64 v[100:101], v[64:65], v[52:53], -v[82:83]
	v_fma_f64 v[102:103], v[66:67], v[52:53], v[84:85]
	ds_load_b128 v[12:15], v244
	ds_load_b128 v[16:19], v244 offset:1632
	ds_load_b128 v[20:23], v244 offset:3264
	;; [unrolled: 1-line block ×7, first 2 shown]
	s_waitcnt lgkmcnt(0)
	s_waitcnt_vscnt null, 0x0
	s_barrier
	buffer_gl0_inv
	v_add_f64 v[68:69], v[12:13], -v[0:1]
	v_add_f64 v[70:71], v[14:15], -v[40:41]
	;; [unrolled: 1-line block ×3, first 2 shown]
	v_mul_lo_u16 v0, 0x44, v104
	v_add_f64 v[84:85], v[28:29], -v[88:89]
	v_add_f64 v[72:73], v[16:17], -v[42:43]
	;; [unrolled: 1-line block ×13, first 2 shown]
	v_and_b32_e32 v1, 0xffff, v105
	v_and_b32_e32 v0, 0xfc, v0
	v_mad_u16 v40, 0x44, v107, v123
	v_mad_u16 v41, 0x44, v108, v120
	;; [unrolled: 1-line block ×3, first 2 shown]
	v_mul_u32_u24_e32 v1, 0x44, v1
	v_add_lshl_u32 v45, v0, v121, 4
	v_mad_u16 v0, 0x44, v106, v122
	v_mad_u16 v43, 0x44, v110, v125
	;; [unrolled: 1-line block ×3, first 2 shown]
	v_add_lshl_u32 v48, v1, v127, 4
	v_and_b32_e32 v1, 0xffff, v40
	v_and_b32_e32 v0, 0xffff, v0
	;; [unrolled: 1-line block ×6, first 2 shown]
	v_lshlrev_b32_e32 v47, 4, v0
	v_lshlrev_b32_e32 v46, 4, v1
	;; [unrolled: 1-line block ×4, first 2 shown]
	v_fma_f64 v[12:13], v[12:13], 2.0, -v[68:69]
	v_fma_f64 v[14:15], v[14:15], 2.0, -v[70:71]
	;; [unrolled: 1-line block ×3, first 2 shown]
	v_lshlrev_b32_e32 v1, 4, v42
	v_fma_f64 v[28:29], v[28:29], 2.0, -v[84:85]
	v_fma_f64 v[16:17], v[16:17], 2.0, -v[72:73]
	;; [unrolled: 1-line block ×13, first 2 shown]
	v_lshlrev_b32_e32 v0, 4, v43
	scratch_store_b32 off, v45, off offset:268 ; 4-byte Folded Spill
	ds_store_b128 v45, v[12:15]
	ds_store_b128 v45, v[68:71] offset:544
	ds_store_b128 v48, v[16:19]
	scratch_store_b32 off, v48, off offset:296 ; 4-byte Folded Spill
	ds_store_b128 v48, v[72:75] offset:544
	ds_store_b128 v47, v[20:23]
	scratch_store_b32 off, v47, off offset:292 ; 4-byte Folded Spill
	;; [unrolled: 3-line block ×7, first 2 shown]
	ds_store_b128 v0, v[116:119] offset:544
	s_waitcnt lgkmcnt(0)
	s_waitcnt_vscnt null, 0x0
	s_barrier
	buffer_gl0_inv
	ds_load_b128 v[136:139], v244
	ds_load_b128 v[132:135], v244 offset:1632
	ds_load_b128 v[80:83], v244 offset:17408
	;; [unrolled: 1-line block ×14, first 2 shown]
	s_and_saveexec_b32 s1, s0
	s_cbranch_execz .LBB0_9
; %bb.8:
	ds_load_b128 v[116:119], v244 offset:8160
	ds_load_b128 v[112:115], v244 offset:16864
	;; [unrolled: 1-line block ×3, first 2 shown]
.LBB0_9:
	s_or_b32 exec_lo, exec_lo, s1
	v_add_co_u32 v0, s1, 0xffffffbc, v176
	s_delay_alu instid0(VALU_DEP_1)
	v_add_co_ci_u32_e64 v1, null, 0, -1, s1
	v_cmp_gt_u16_e64 s1, 0x44, v176
	v_lshrrev_b32_e32 v52, 22, v7
	v_lshrrev_b32_e32 v54, 22, v10
	;; [unrolled: 1-line block ×3, first 2 shown]
	s_mov_b32 s10, 0xe8584caa
	v_cndmask_b32_e64 v0, v0, v176, s1
	v_cndmask_b32_e64 v1, v1, 0, s1
	s_mov_b32 s11, 0x3febb67a
	s_mov_b32 s15, 0xbfebb67a
	s_mov_b32 s14, s10
	s_delay_alu instid0(VALU_DEP_1) | instskip(SKIP_1) | instid1(VALU_DEP_2)
	v_lshlrev_b64 v[12:13], 5, v[0:1]
	v_mul_lo_u16 v1, 0x79, v6
	v_add_co_u32 v12, s1, s2, v12
	s_delay_alu instid0(VALU_DEP_1)
	v_add_co_ci_u32_e64 v13, s1, s3, v13, s1
	s_clause 0x1
	global_load_b128 v[14:17], v[12:13], off offset:816
	global_load_b128 v[22:25], v[12:13], off offset:832
	s_waitcnt vmcnt(1) lgkmcnt(4)
	v_mul_f64 v[12:13], v[86:87], v[16:17]
	scratch_store_b128 off, v[14:17], off offset:332 ; 16-byte Folded Spill
	s_waitcnt vmcnt(0)
	scratch_store_b128 off, v[22:25], off offset:348 ; 16-byte Folded Spill
	v_fma_f64 v[18:19], v[84:85], v[14:15], -v[12:13]
	v_mul_f64 v[12:13], v[84:85], v[16:17]
	s_delay_alu instid0(VALU_DEP_1) | instskip(SKIP_1) | instid1(VALU_DEP_1)
	v_fma_f64 v[14:15], v[86:87], v[14:15], v[12:13]
	v_mul_f64 v[12:13], v[82:83], v[24:25]
	v_fma_f64 v[20:21], v[80:81], v[22:23], -v[12:13]
	v_mul_f64 v[12:13], v[80:81], v[24:25]
	s_delay_alu instid0(VALU_DEP_1) | instskip(SKIP_1) | instid1(VALU_DEP_1)
	v_fma_f64 v[16:17], v[82:83], v[22:23], v[12:13]
	v_lshrrev_b16 v12, 13, v1
	v_mul_lo_u16 v1, 0x44, v12
	s_delay_alu instid0(VALU_DEP_1) | instskip(NEXT) | instid1(VALU_DEP_1)
	v_sub_nc_u16 v1, v5, v1
	v_and_b32_e32 v13, 0xff, v1
	s_delay_alu instid0(VALU_DEP_1) | instskip(SKIP_4) | instid1(VALU_DEP_1)
	v_lshlrev_b32_e32 v1, 5, v13
	s_clause 0x1
	global_load_b128 v[22:25], v1, s[2:3] offset:816
	global_load_b128 v[34:37], v1, s[2:3] offset:832
	v_mul_lo_u16 v1, 0x44, v52
	v_sub_nc_u16 v53, v3, v1
	s_delay_alu instid0(VALU_DEP_1) | instskip(NEXT) | instid1(VALU_DEP_1)
	v_lshlrev_b16 v1, 5, v53
	v_and_b32_e32 v1, 0xffff, v1
	s_waitcnt vmcnt(1)
	v_mul_f64 v[5:6], v[94:95], v[24:25]
	scratch_store_b128 off, v[22:25], off offset:364 ; 16-byte Folded Spill
	s_waitcnt vmcnt(0)
	scratch_store_b128 off, v[34:37], off offset:380 ; 16-byte Folded Spill
	v_fma_f64 v[30:31], v[92:93], v[22:23], -v[5:6]
	v_mul_f64 v[5:6], v[92:93], v[24:25]
	s_delay_alu instid0(VALU_DEP_1) | instskip(SKIP_1) | instid1(VALU_DEP_1)
	v_fma_f64 v[26:27], v[94:95], v[22:23], v[5:6]
	v_mul_f64 v[5:6], v[90:91], v[36:37]
	v_fma_f64 v[32:33], v[88:89], v[34:35], -v[5:6]
	v_mul_f64 v[5:6], v[88:89], v[36:37]
	s_delay_alu instid0(VALU_DEP_1) | instskip(SKIP_1) | instid1(VALU_DEP_1)
	v_fma_f64 v[28:29], v[90:91], v[34:35], v[5:6]
	v_add_co_u32 v5, s1, s2, v1
	v_add_co_ci_u32_e64 v6, null, s3, 0, s1
	s_clause 0x1
	global_load_b128 v[22:25], v[5:6], off offset:816
	global_load_b128 v[34:37], v[5:6], off offset:832
	v_mul_lo_u16 v1, 0x44, v54
	s_delay_alu instid0(VALU_DEP_1) | instskip(NEXT) | instid1(VALU_DEP_1)
	v_sub_nc_u16 v55, v4, v1
	v_lshlrev_b16 v1, 5, v55
	s_delay_alu instid0(VALU_DEP_1) | instskip(NEXT) | instid1(VALU_DEP_1)
	v_and_b32_e32 v1, 0xffff, v1
	v_add_co_u32 v3, s1, s2, v1
	s_delay_alu instid0(VALU_DEP_1) | instskip(SKIP_1) | instid1(VALU_DEP_1)
	v_add_co_ci_u32_e64 v4, null, s3, 0, s1
	v_mul_lo_u16 v1, 0x44, v56
	v_sub_nc_u16 v57, v2, v1
	s_delay_alu instid0(VALU_DEP_1) | instskip(NEXT) | instid1(VALU_DEP_1)
	v_lshlrev_b16 v1, 5, v57
	v_and_b32_e32 v1, 0xffff, v1
	s_delay_alu instid0(VALU_DEP_1) | instskip(NEXT) | instid1(VALU_DEP_1)
	v_add_co_u32 v1, s1, s2, v1
	v_add_co_ci_u32_e64 v2, null, s3, 0, s1
	s_waitcnt vmcnt(1)
	v_mul_f64 v[5:6], v[98:99], v[24:25]
	scratch_store_b128 off, v[22:25], off offset:396 ; 16-byte Folded Spill
	s_waitcnt vmcnt(0)
	scratch_store_b128 off, v[34:37], off offset:412 ; 16-byte Folded Spill
	v_fma_f64 v[38:39], v[96:97], v[22:23], -v[5:6]
	v_mul_f64 v[5:6], v[96:97], v[24:25]
	s_delay_alu instid0(VALU_DEP_1) | instskip(SKIP_1) | instid1(VALU_DEP_1)
	v_fma_f64 v[40:41], v[98:99], v[22:23], v[5:6]
	v_mul_f64 v[5:6], v[102:103], v[36:37]
	v_fma_f64 v[42:43], v[100:101], v[34:35], -v[5:6]
	v_mul_f64 v[5:6], v[100:101], v[36:37]
	s_delay_alu instid0(VALU_DEP_1)
	v_fma_f64 v[44:45], v[102:103], v[34:35], v[5:6]
	s_clause 0x1
	global_load_b128 v[22:25], v[3:4], off offset:816
	global_load_b128 v[34:37], v[3:4], off offset:832
	s_waitcnt vmcnt(1) lgkmcnt(2)
	v_mul_f64 v[3:4], v[110:111], v[24:25]
	scratch_store_b128 off, v[22:25], off offset:428 ; 16-byte Folded Spill
	s_waitcnt vmcnt(0)
	scratch_store_b128 off, v[34:37], off offset:444 ; 16-byte Folded Spill
	v_fma_f64 v[46:47], v[108:109], v[22:23], -v[3:4]
	v_mul_f64 v[3:4], v[108:109], v[24:25]
	s_delay_alu instid0(VALU_DEP_1) | instskip(SKIP_1) | instid1(VALU_DEP_1)
	v_fma_f64 v[48:49], v[110:111], v[22:23], v[3:4]
	v_mul_f64 v[3:4], v[106:107], v[36:37]
	v_fma_f64 v[50:51], v[104:105], v[34:35], -v[3:4]
	v_mul_f64 v[3:4], v[104:105], v[36:37]
	v_add_f64 v[36:37], v[136:137], v[18:19]
	s_delay_alu instid0(VALU_DEP_2)
	v_fma_f64 v[144:145], v[106:107], v[34:35], v[3:4]
	s_clause 0x1
	global_load_b128 v[3:6], v[1:2], off offset:816
	global_load_b128 v[22:25], v[1:2], off offset:832
	v_add_f64 v[34:35], v[138:139], v[14:15]
	s_waitcnt vmcnt(1) lgkmcnt(1)
	v_mul_f64 v[1:2], v[70:71], v[5:6]
	scratch_store_b128 off, v[3:6], off offset:460 ; 16-byte Folded Spill
	s_waitcnt vmcnt(0)
	scratch_store_b128 off, v[22:25], off offset:476 ; 16-byte Folded Spill
	v_fma_f64 v[9:10], v[68:69], v[3:4], -v[1:2]
	v_mul_f64 v[1:2], v[68:69], v[5:6]
	v_add_f64 v[68:69], v[26:27], -v[28:29]
	s_delay_alu instid0(VALU_DEP_2) | instskip(SKIP_2) | instid1(VALU_DEP_1)
	v_fma_f64 v[146:147], v[70:71], v[3:4], v[1:2]
	s_waitcnt lgkmcnt(0)
	v_mul_f64 v[1:2], v[66:67], v[24:25]
	v_fma_f64 v[148:149], v[64:65], v[22:23], -v[1:2]
	v_mul_f64 v[1:2], v[64:65], v[24:25]
	v_add_f64 v[64:65], v[14:15], -v[16:17]
	s_delay_alu instid0(VALU_DEP_2) | instskip(SKIP_2) | instid1(VALU_DEP_2)
	v_fma_f64 v[150:151], v[66:67], v[22:23], v[1:2]
	v_lshrrev_b32_e32 v1, 22, v11
	v_add_f64 v[66:67], v[132:133], v[30:31]
	v_mul_lo_u16 v1, 0x44, v1
	s_delay_alu instid0(VALU_DEP_1) | instskip(NEXT) | instid1(VALU_DEP_1)
	v_sub_nc_u16 v11, v8, v1
	v_lshlrev_b16 v1, 5, v11
	v_and_b32_e32 v152, 0xffff, v11
	s_delay_alu instid0(VALU_DEP_2) | instskip(NEXT) | instid1(VALU_DEP_1)
	v_and_b32_e32 v1, 0xffff, v1
	v_add_co_u32 v1, s1, s2, v1
	s_delay_alu instid0(VALU_DEP_1)
	v_add_co_ci_u32_e64 v2, null, s3, 0, s1
	s_clause 0x1
	global_load_b128 v[5:8], v[1:2], off offset:816
	global_load_b128 v[22:25], v[1:2], off offset:832
	v_cmp_lt_u16_e64 s1, 0x43, v176
	s_waitcnt vmcnt(1)
	v_mul_f64 v[1:2], v[114:115], v[7:8]
	v_mul_f64 v[3:4], v[112:113], v[7:8]
	scratch_store_b128 off, v[5:8], off offset:636 ; 16-byte Folded Spill
	s_waitcnt vmcnt(0)
	scratch_store_b128 off, v[22:25], off offset:652 ; 16-byte Folded Spill
	s_waitcnt_vscnt null, 0x0
	s_barrier
	buffer_gl0_inv
	v_fma_f64 v[1:2], v[112:113], v[5:6], -v[1:2]
	v_fma_f64 v[7:8], v[114:115], v[5:6], v[3:4]
	v_mul_f64 v[3:4], v[142:143], v[24:25]
	v_mul_f64 v[5:6], v[140:141], v[24:25]
	v_add_f64 v[24:25], v[14:15], v[16:17]
	v_add_f64 v[16:17], v[34:35], v[16:17]
	v_add_f64 v[14:15], v[36:37], v[20:21]
	v_add_f64 v[34:35], v[18:19], -v[20:21]
	v_add_f64 v[36:37], v[26:27], v[28:29]
	v_fma_f64 v[3:4], v[140:141], v[22:23], -v[3:4]
	v_fma_f64 v[5:6], v[142:143], v[22:23], v[5:6]
	v_add_f64 v[22:23], v[18:19], v[20:21]
	v_fma_f64 v[24:25], v[24:25], -0.5, v[138:139]
	v_fma_f64 v[36:37], v[36:37], -0.5, v[134:135]
	s_delay_alu instid0(VALU_DEP_3) | instskip(NEXT) | instid1(VALU_DEP_3)
	v_fma_f64 v[22:23], v[22:23], -0.5, v[136:137]
	v_fma_f64 v[20:21], v[34:35], s[14:15], v[24:25]
	v_fma_f64 v[24:25], v[34:35], s[10:11], v[24:25]
	v_add_f64 v[34:35], v[30:31], v[32:33]
	s_delay_alu instid0(VALU_DEP_4) | instskip(SKIP_4) | instid1(VALU_DEP_3)
	v_fma_f64 v[18:19], v[64:65], s[10:11], v[22:23]
	v_fma_f64 v[22:23], v[64:65], s[14:15], v[22:23]
	v_add_f64 v[64:65], v[134:135], v[26:27]
	v_add_f64 v[26:27], v[66:67], v[32:33]
	v_fma_f64 v[34:35], v[34:35], -0.5, v[132:133]
	v_add_f64 v[28:29], v[64:65], v[28:29]
	v_add_f64 v[64:65], v[30:31], -v[32:33]
	s_delay_alu instid0(VALU_DEP_3) | instskip(SKIP_2) | instid1(VALU_DEP_4)
	v_fma_f64 v[30:31], v[68:69], s[10:11], v[34:35]
	v_fma_f64 v[34:35], v[68:69], s[14:15], v[34:35]
	v_add_f64 v[68:69], v[128:129], v[38:39]
	v_fma_f64 v[32:33], v[64:65], s[14:15], v[36:37]
	v_fma_f64 v[36:37], v[64:65], s[10:11], v[36:37]
	v_add_f64 v[64:65], v[38:39], v[42:43]
	v_add_f64 v[38:39], v[38:39], -v[42:43]
	s_delay_alu instid0(VALU_DEP_2) | instskip(SKIP_1) | instid1(VALU_DEP_1)
	v_fma_f64 v[70:71], v[64:65], -0.5, v[128:129]
	v_add_f64 v[64:65], v[40:41], v[44:45]
	v_fma_f64 v[114:115], v[64:65], -0.5, v[130:131]
	v_add_f64 v[64:65], v[130:131], v[40:41]
	v_add_f64 v[40:41], v[40:41], -v[44:45]
	s_delay_alu instid0(VALU_DEP_2) | instskip(SKIP_1) | instid1(VALU_DEP_3)
	v_add_f64 v[66:67], v[64:65], v[44:45]
	v_add_f64 v[64:65], v[68:69], v[42:43]
	v_fma_f64 v[68:69], v[40:41], s[10:11], v[70:71]
	v_fma_f64 v[112:113], v[40:41], s[14:15], v[70:71]
	v_add_f64 v[40:41], v[48:49], v[144:145]
	v_add_f64 v[42:43], v[126:127], v[48:49]
	v_fma_f64 v[70:71], v[38:39], s[14:15], v[114:115]
	v_fma_f64 v[114:115], v[38:39], s[10:11], v[114:115]
	v_add_f64 v[38:39], v[46:47], v[50:51]
	v_add_f64 v[44:45], v[124:125], v[46:47]
	v_add_f64 v[48:49], v[48:49], -v[144:145]
	v_fma_f64 v[40:41], v[40:41], -0.5, v[126:127]
	v_add_f64 v[126:127], v[42:43], v[144:145]
	v_add_f64 v[42:43], v[46:47], -v[50:51]
	v_add_f64 v[46:47], v[146:147], -v[150:151]
	v_fma_f64 v[38:39], v[38:39], -0.5, v[124:125]
	v_add_f64 v[124:125], v[44:45], v[50:51]
	v_add_f64 v[44:45], v[120:121], v[9:10]
	v_fma_f64 v[130:131], v[42:43], s[14:15], v[40:41]
	v_fma_f64 v[134:135], v[42:43], s[10:11], v[40:41]
	v_add_f64 v[40:41], v[146:147], v[150:151]
	v_fma_f64 v[128:129], v[48:49], s[10:11], v[38:39]
	v_fma_f64 v[132:133], v[48:49], s[14:15], v[38:39]
	v_add_f64 v[38:39], v[9:10], v[148:149]
	v_add_f64 v[9:10], v[9:10], -v[148:149]
	v_add_f64 v[42:43], v[122:123], v[146:147]
	v_fma_f64 v[40:41], v[40:41], -0.5, v[122:123]
	s_delay_alu instid0(VALU_DEP_4) | instskip(SKIP_1) | instid1(VALU_DEP_4)
	v_fma_f64 v[38:39], v[38:39], -0.5, v[120:121]
	v_add_f64 v[120:121], v[44:45], v[148:149]
	v_add_f64 v[122:123], v[42:43], v[150:151]
	s_delay_alu instid0(VALU_DEP_4)
	v_fma_f64 v[138:139], v[9:10], s[14:15], v[40:41]
	v_fma_f64 v[142:143], v[9:10], s[10:11], v[40:41]
	v_add_f64 v[9:10], v[1:2], v[3:4]
	v_fma_f64 v[136:137], v[46:47], s[10:11], v[38:39]
	v_fma_f64 v[140:141], v[46:47], s[14:15], v[38:39]
	v_add_f64 v[38:39], v[7:8], v[5:6]
	v_add_f64 v[40:41], v[7:8], -v[5:6]
	v_fma_f64 v[9:10], v[9:10], -0.5, v[116:117]
	s_delay_alu instid0(VALU_DEP_3) | instskip(NEXT) | instid1(VALU_DEP_2)
	v_fma_f64 v[38:39], v[38:39], -0.5, v[118:119]
	v_fma_f64 v[172:173], v[40:41], s[10:11], v[9:10]
	v_fma_f64 v[153:154], v[40:41], s[14:15], v[9:10]
	v_add_f64 v[9:10], v[1:2], -v[3:4]
	s_delay_alu instid0(VALU_DEP_1) | instskip(SKIP_2) | instid1(VALU_DEP_1)
	v_fma_f64 v[174:175], v[9:10], s[14:15], v[38:39]
	v_fma_f64 v[155:156], v[9:10], s[10:11], v[38:39]
	v_cndmask_b32_e64 v9, 0, 0xcc, s1
	v_add_lshl_u32 v171, v0, v9, 4
	v_and_b32_e32 v0, 0xffff, v12
	ds_store_b128 v171, v[14:17]
	ds_store_b128 v171, v[18:21] offset:1088
	ds_store_b128 v171, v[22:25] offset:2176
	v_mul_u32_u24_e32 v0, 0xcc, v0
	s_delay_alu instid0(VALU_DEP_1)
	v_add_lshl_u32 v157, v0, v13, 4
	v_mad_u16 v0, 0xcc, v52, v53
	ds_store_b128 v157, v[26:29]
	ds_store_b128 v157, v[30:33] offset:1088
	ds_store_b128 v157, v[34:37] offset:2176
	v_and_b32_e32 v0, 0xffff, v0
	s_delay_alu instid0(VALU_DEP_1)
	v_lshlrev_b32_e32 v160, 4, v0
	v_mad_u16 v0, 0xcc, v54, v55
	ds_store_b128 v160, v[64:67]
	ds_store_b128 v160, v[68:71] offset:1088
	ds_store_b128 v160, v[112:115] offset:2176
	v_and_b32_e32 v0, 0xffff, v0
	s_delay_alu instid0(VALU_DEP_1)
	v_lshlrev_b32_e32 v159, 4, v0
	;; [unrolled: 7-line block ×3, first 2 shown]
	ds_store_b128 v158, v[120:123]
	ds_store_b128 v158, v[136:139] offset:1088
	ds_store_b128 v158, v[140:143] offset:2176
	s_and_saveexec_b32 s1, s0
	s_cbranch_execz .LBB0_11
; %bb.10:
	v_add_f64 v[7:8], v[118:119], v[7:8]
	v_add_f64 v[0:1], v[116:117], v[1:2]
	s_delay_alu instid0(VALU_DEP_2) | instskip(NEXT) | instid1(VALU_DEP_2)
	v_add_f64 v[5:6], v[7:8], v[5:6]
	v_add_f64 v[3:4], v[0:1], v[3:4]
	v_lshlrev_b32_e32 v0, 4, v152
	ds_store_b128 v0, v[3:6] offset:22848
	ds_store_b128 v0, v[172:175] offset:23936
	;; [unrolled: 1-line block ×3, first 2 shown]
.LBB0_11:
	s_or_b32 exec_lo, exec_lo, s1
	v_mad_u64_u32 v[28:29], null, 0x70, v176, s[2:3]
	s_waitcnt lgkmcnt(0)
	s_barrier
	buffer_gl0_inv
	s_mov_b32 s2, 0x667f3bcd
	s_mov_b32 s3, 0xbfe6a09e
	s_mov_b32 s11, 0x3fe6a09e
	s_clause 0x5
	global_load_b128 v[148:151], v[28:29], off offset:2992
	global_load_b128 v[144:147], v[28:29], off offset:3008
	;; [unrolled: 1-line block ×6, first 2 shown]
	ds_load_b128 v[0:3], v244 offset:3264
	ds_load_b128 v[4:7], v244 offset:6528
	;; [unrolled: 1-line block ×7, first 2 shown]
	v_add_co_u32 v68, s1, 0x2ca0, v28
	s_delay_alu instid0(VALU_DEP_1)
	v_add_co_ci_u32_e64 v69, s1, 0, v29, s1
	s_mov_b32 s10, s2
	s_waitcnt vmcnt(5) lgkmcnt(6)
	v_mul_f64 v[30:31], v[2:3], v[150:151]
	v_mul_f64 v[32:33], v[0:1], v[150:151]
	s_waitcnt vmcnt(4) lgkmcnt(5)
	v_mul_f64 v[34:35], v[6:7], v[146:147]
	v_mul_f64 v[36:37], v[4:5], v[146:147]
	;; [unrolled: 3-line block ×3, first 2 shown]
	v_mul_f64 v[40:41], v[16:17], v[142:143]
	v_fma_f64 v[42:43], v[0:1], v[148:149], -v[30:31]
	v_mul_f64 v[30:31], v[26:27], v[138:139]
	v_fma_f64 v[32:33], v[2:3], v[148:149], v[32:33]
	ds_load_b128 v[0:3], v244 offset:14688
	v_fma_f64 v[34:35], v[4:5], v[144:145], -v[34:35]
	v_fma_f64 v[36:37], v[6:7], v[144:145], v[36:37]
	ds_load_b128 v[4:7], v244 offset:19584
	v_fma_f64 v[38:39], v[16:17], v[140:141], -v[38:39]
	v_fma_f64 v[40:41], v[18:19], v[140:141], v[40:41]
	v_fma_f64 v[44:45], v[26:27], v[136:137], v[44:45]
	ds_load_b128 v[16:19], v244 offset:21216
	v_fma_f64 v[46:47], v[24:25], v[136:137], -v[30:31]
	s_waitcnt vmcnt(1) lgkmcnt(1)
	v_mul_f64 v[24:25], v[6:7], v[163:164]
	s_delay_alu instid0(VALU_DEP_1) | instskip(SKIP_1) | instid1(VALU_DEP_1)
	v_fma_f64 v[48:49], v[4:5], v[161:162], -v[24:25]
	v_mul_f64 v[4:5], v[4:5], v[163:164]
	v_fma_f64 v[50:51], v[6:7], v[161:162], v[4:5]
	ds_load_b128 v[4:7], v244 offset:16320
	ds_load_b128 v[24:27], v244 offset:17952
	s_clause 0x1
	global_load_b128 v[56:59], v[28:29], off offset:3088
	global_load_b128 v[52:55], v[68:69], off offset:2992
	s_waitcnt vmcnt(2) lgkmcnt(1)
	v_mul_f64 v[30:31], v[6:7], v[167:168]
	s_delay_alu instid0(VALU_DEP_1) | instskip(SKIP_1) | instid1(VALU_DEP_1)
	v_fma_f64 v[64:65], v[4:5], v[165:166], -v[30:31]
	v_mul_f64 v[4:5], v[4:5], v[167:168]
	v_fma_f64 v[66:67], v[6:7], v[165:166], v[4:5]
	ds_load_b128 v[4:7], v244 offset:22848
	ds_load_b128 v[28:31], v244 offset:24480
	s_waitcnt vmcnt(1) lgkmcnt(1)
	v_mul_f64 v[70:71], v[6:7], v[58:59]
	scratch_store_b128 off, v[56:59], off offset:508 ; 16-byte Folded Spill
	s_waitcnt vmcnt(0)
	scratch_store_b128 off, v[52:55], off offset:492 ; 16-byte Folded Spill
	v_fma_f64 v[70:71], v[4:5], v[56:57], -v[70:71]
	v_mul_f64 v[4:5], v[4:5], v[58:59]
	s_delay_alu instid0(VALU_DEP_2) | instskip(NEXT) | instid1(VALU_DEP_2)
	v_add_f64 v[70:71], v[38:39], -v[70:71]
	v_fma_f64 v[128:129], v[6:7], v[56:57], v[4:5]
	v_mul_f64 v[4:5], v[10:11], v[54:55]
	s_delay_alu instid0(VALU_DEP_3) | instskip(NEXT) | instid1(VALU_DEP_2)
	v_fma_f64 v[38:39], v[38:39], 2.0, -v[70:71]
	v_fma_f64 v[130:131], v[8:9], v[52:53], -v[4:5]
	v_mul_f64 v[4:5], v[8:9], v[54:55]
	s_delay_alu instid0(VALU_DEP_1)
	v_fma_f64 v[8:9], v[10:11], v[52:53], v[4:5]
	s_clause 0x1
	global_load_b128 v[56:59], v[68:69], off offset:3008
	global_load_b128 v[52:55], v[68:69], off offset:3024
	s_waitcnt vmcnt(1)
	v_mul_f64 v[4:5], v[14:15], v[58:59]
	scratch_store_b128 off, v[56:59], off offset:540 ; 16-byte Folded Spill
	v_fma_f64 v[10:11], v[12:13], v[56:57], -v[4:5]
	v_mul_f64 v[4:5], v[12:13], v[58:59]
	s_delay_alu instid0(VALU_DEP_1)
	v_fma_f64 v[12:13], v[14:15], v[56:57], v[4:5]
	s_clause 0x1
	global_load_b128 v[60:63], v[68:69], off offset:3040
	global_load_b128 v[56:59], v[68:69], off offset:3056
	s_waitcnt vmcnt(1)
	v_mul_f64 v[4:5], v[2:3], v[62:63]
	scratch_store_b128 off, v[60:63], off offset:588 ; 16-byte Folded Spill
	v_fma_f64 v[14:15], v[0:1], v[60:61], -v[4:5]
	v_mul_f64 v[0:1], v[0:1], v[62:63]
	s_delay_alu instid0(VALU_DEP_1)
	v_fma_f64 v[176:177], v[2:3], v[60:61], v[0:1]
	s_clause 0x1
	global_load_b128 v[60:63], v[68:69], off offset:3072
	global_load_b128 v[2:5], v[68:69], off offset:3088
	s_waitcnt vmcnt(2)
	s_clause 0x1
	scratch_store_b128 off, v[56:59], off offset:556
	scratch_store_b128 off, v[52:55], off offset:524
	s_waitcnt vmcnt(1)
	v_mul_f64 v[0:1], v[18:19], v[62:63]
	scratch_store_b128 off, v[60:63], off offset:604 ; 16-byte Folded Spill
	s_waitcnt vmcnt(0)
	scratch_store_b128 off, v[2:5], off offset:572 ; 16-byte Folded Spill
	v_fma_f64 v[68:69], v[16:17], v[60:61], -v[0:1]
	v_mul_f64 v[0:1], v[16:17], v[62:63]
	s_delay_alu instid0(VALU_DEP_2) | instskip(NEXT) | instid1(VALU_DEP_2)
	v_add_f64 v[68:69], v[10:11], -v[68:69]
	v_fma_f64 v[16:17], v[18:19], v[60:61], v[0:1]
	v_mul_f64 v[0:1], v[26:27], v[58:59]
	s_delay_alu instid0(VALU_DEP_3) | instskip(NEXT) | instid1(VALU_DEP_3)
	v_fma_f64 v[10:11], v[10:11], 2.0, -v[68:69]
	v_add_f64 v[16:17], v[12:13], -v[16:17]
	s_delay_alu instid0(VALU_DEP_3) | instskip(SKIP_1) | instid1(VALU_DEP_3)
	v_fma_f64 v[18:19], v[24:25], v[56:57], -v[0:1]
	v_mul_f64 v[0:1], v[24:25], v[58:59]
	v_fma_f64 v[12:13], v[12:13], 2.0, -v[16:17]
	s_delay_alu instid0(VALU_DEP_3) | instskip(NEXT) | instid1(VALU_DEP_3)
	v_add_f64 v[18:19], v[130:131], -v[18:19]
	v_fma_f64 v[24:25], v[26:27], v[56:57], v[0:1]
	v_mul_f64 v[0:1], v[22:23], v[54:55]
	s_delay_alu instid0(VALU_DEP_2) | instskip(NEXT) | instid1(VALU_DEP_2)
	v_add_f64 v[24:25], v[8:9], -v[24:25]
	v_fma_f64 v[26:27], v[20:21], v[52:53], -v[0:1]
	v_mul_f64 v[0:1], v[20:21], v[54:55]
	s_delay_alu instid0(VALU_DEP_3) | instskip(NEXT) | instid1(VALU_DEP_2)
	v_fma_f64 v[8:9], v[8:9], 2.0, -v[24:25]
	v_fma_f64 v[20:21], v[22:23], v[52:53], v[0:1]
	s_waitcnt lgkmcnt(0)
	v_mul_f64 v[0:1], v[30:31], v[4:5]
	s_delay_alu instid0(VALU_DEP_1) | instskip(SKIP_1) | instid1(VALU_DEP_2)
	v_fma_f64 v[22:23], v[28:29], v[2:3], -v[0:1]
	v_mul_f64 v[0:1], v[28:29], v[4:5]
	v_add_f64 v[22:23], v[26:27], -v[22:23]
	s_delay_alu instid0(VALU_DEP_2)
	v_fma_f64 v[28:29], v[30:31], v[2:3], v[0:1]
	ds_load_b128 v[0:3], v244
	ds_load_b128 v[4:7], v244 offset:1632
	s_waitcnt lgkmcnt(1)
	v_add_f64 v[30:31], v[0:1], -v[46:47]
	v_add_f64 v[44:45], v[2:3], -v[44:45]
	;; [unrolled: 1-line block ×7, first 2 shown]
	s_waitcnt lgkmcnt(0)
	v_add_f64 v[176:177], v[6:7], -v[176:177]
	v_add_f64 v[14:15], v[4:5], -v[14:15]
	v_add_f64 v[190:191], v[24:25], v[22:23]
	v_add_f64 v[28:29], v[20:21], -v[28:29]
	v_fma_f64 v[0:1], v[0:1], 2.0, -v[30:31]
	v_fma_f64 v[2:3], v[2:3], 2.0, -v[44:45]
	v_add_f64 v[178:179], v[44:45], v[46:47]
	v_add_f64 v[128:129], v[30:31], -v[48:49]
	v_fma_f64 v[42:43], v[42:43], 2.0, -v[50:51]
	v_add_f64 v[182:183], v[64:65], v[70:71]
	v_add_f64 v[180:181], v[50:51], -v[66:67]
	v_fma_f64 v[6:7], v[6:7], 2.0, -v[176:177]
	v_fma_f64 v[4:5], v[4:5], 2.0, -v[14:15]
	;; [unrolled: 1-line block ×6, first 2 shown]
	v_add_f64 v[188:189], v[18:19], -v[28:29]
	v_fma_f64 v[20:21], v[20:21], 2.0, -v[28:29]
	v_fma_f64 v[44:45], v[44:45], 2.0, -v[178:179]
	;; [unrolled: 1-line block ×3, first 2 shown]
	v_fma_f64 v[186:187], v[182:183], s[10:11], v[178:179]
	v_fma_f64 v[184:185], v[180:181], s[10:11], v[128:129]
	v_add_f64 v[12:13], v[6:7], -v[12:13]
	v_add_f64 v[10:11], v[4:5], -v[10:11]
	;; [unrolled: 1-line block ×3, first 2 shown]
	v_fma_f64 v[192:193], v[18:19], 2.0, -v[188:189]
	v_add_f64 v[20:21], v[8:9], -v[20:21]
	v_fma_f64 v[210:211], v[180:181], s[10:11], v[186:187]
	v_fma_f64 v[180:181], v[50:51], 2.0, -v[180:181]
	v_fma_f64 v[208:209], v[182:183], s[2:3], v[184:185]
	v_fma_f64 v[182:183], v[64:65], 2.0, -v[182:183]
	v_fma_f64 v[4:5], v[4:5], 2.0, -v[10:11]
	;; [unrolled: 1-line block ×6, first 2 shown]
	v_fma_f64 v[184:185], v[180:181], s[2:3], v[30:31]
	v_fma_f64 v[232:233], v[128:129], 2.0, -v[208:209]
	v_fma_f64 v[186:187], v[182:183], s[2:3], v[44:45]
	v_add_f64 v[198:199], v[6:7], -v[8:9]
	s_delay_alu instid0(VALU_DEP_4) | instskip(SKIP_1) | instid1(VALU_DEP_4)
	v_fma_f64 v[220:221], v[182:183], s[2:3], v[184:185]
	v_add_f64 v[182:183], v[176:177], v[68:69]
	v_fma_f64 v[222:223], v[180:181], s[10:11], v[186:187]
	v_add_f64 v[180:181], v[14:15], -v[16:17]
	v_fma_f64 v[16:17], v[130:131], 2.0, -v[18:19]
	v_fma_f64 v[18:19], v[26:27], 2.0, -v[22:23]
	v_add_f64 v[22:23], v[42:43], -v[38:39]
	v_add_f64 v[26:27], v[0:1], -v[34:35]
	v_fma_f64 v[218:219], v[6:7], 2.0, -v[198:199]
	v_fma_f64 v[240:241], v[30:31], 2.0, -v[220:221]
	v_fma_f64 v[186:187], v[190:191], s[10:11], v[182:183]
	v_fma_f64 v[176:177], v[176:177], 2.0, -v[182:183]
	v_fma_f64 v[184:185], v[188:189], s[10:11], v[180:181]
	v_fma_f64 v[14:15], v[14:15], 2.0, -v[180:181]
	v_add_f64 v[18:19], v[16:17], -v[18:19]
	v_fma_f64 v[34:35], v[42:43], 2.0, -v[22:23]
	v_fma_f64 v[0:1], v[0:1], 2.0, -v[26:27]
	v_add_f64 v[226:227], v[28:29], v[22:23]
	v_fma_f64 v[242:243], v[44:45], 2.0, -v[222:223]
	v_fma_f64 v[186:187], v[188:189], s[10:11], v[186:187]
	v_fma_f64 v[188:189], v[24:25], 2.0, -v[190:191]
	v_add_f64 v[24:25], v[32:33], -v[40:41]
	v_fma_f64 v[184:185], v[190:191], s[2:3], v[184:185]
	v_fma_f64 v[190:191], v[192:193], s[2:3], v[14:15]
	v_fma_f64 v[16:17], v[16:17], 2.0, -v[18:19]
	v_add_f64 v[228:229], v[0:1], -v[34:35]
	v_fma_f64 v[238:239], v[28:29], 2.0, -v[226:227]
	v_fma_f64 v[202:203], v[182:183], 2.0, -v[186:187]
	v_fma_f64 v[194:195], v[188:189], s[2:3], v[176:177]
	v_fma_f64 v[32:33], v[32:33], 2.0, -v[24:25]
	v_add_f64 v[224:225], v[26:27], -v[24:25]
	v_fma_f64 v[188:189], v[188:189], s[2:3], v[190:191]
	v_add_f64 v[196:197], v[4:5], -v[16:17]
	v_fma_f64 v[200:201], v[180:181], 2.0, -v[184:185]
	v_fma_f64 v[180:181], v[0:1], 2.0, -v[228:229]
	v_fma_f64 v[190:191], v[192:193], s[10:11], v[194:195]
	v_add_f64 v[192:193], v[10:11], -v[20:21]
	v_add_f64 v[194:195], v[12:13], v[18:19]
	v_add_f64 v[230:231], v[2:3], -v[32:33]
	v_fma_f64 v[236:237], v[26:27], 2.0, -v[224:225]
	v_fma_f64 v[216:217], v[4:5], 2.0, -v[196:197]
	;; [unrolled: 1-line block ×7, first 2 shown]
	ds_store_b128 v244, v[224:227] offset:19584
	ds_store_b128 v244, v[192:195] offset:21216
	;; [unrolled: 1-line block ×12, first 2 shown]
	ds_store_b128 v244, v[180:183]
	ds_store_b128 v244, v[216:219] offset:1632
	ds_store_b128 v244, v[240:243] offset:3264
	;; [unrolled: 1-line block ×3, first 2 shown]
	s_waitcnt lgkmcnt(0)
	s_waitcnt_vscnt null, 0x0
	s_barrier
	buffer_gl0_inv
	s_and_saveexec_b32 s10, vcc_lo
	s_cbranch_execz .LBB0_13
; %bb.12:
	s_add_u32 s2, s8, 0x6600
	s_addc_u32 s3, s9, 0
	v_add_co_u32 v0, s1, s2, v255
	s_clause 0x2
	global_load_b128 v[2:5], v255, s[2:3]
	global_load_b128 v[6:9], v255, s[2:3] offset:1536
	global_load_b128 v[10:13], v255, s[2:3] offset:3072
	v_add_co_ci_u32_e64 v1, null, s3, 0, s1
	v_add_co_u32 v22, s1, 0x1000, v0
	v_or_b32_e32 v18, 0x1800, v255
	s_delay_alu instid0(VALU_DEP_3) | instskip(SKIP_1) | instid1(VALU_DEP_1)
	v_add_co_ci_u32_e64 v23, s1, 0, v1, s1
	v_add_co_u32 v30, s1, 0x2000, v0
	v_add_co_ci_u32_e64 v31, s1, 0, v1, s1
	s_clause 0x4
	global_load_b128 v[14:17], v[22:23], off offset:512
	global_load_b128 v[18:21], v18, s[2:3]
	global_load_b128 v[22:25], v[22:23], off offset:3584
	global_load_b128 v[26:29], v[30:31], off offset:1024
	;; [unrolled: 1-line block ×3, first 2 shown]
	v_or_b32_e32 v34, 0x3000, v255
	ds_load_b128 v[64:67], v244
	v_add_co_u32 v40, s1, 0x3000, v0
	s_delay_alu instid0(VALU_DEP_1)
	v_add_co_ci_u32_e64 v41, s1, 0, v1, s1
	s_clause 0x2
	global_load_b128 v[34:37], v34, s[2:3]
	global_load_b128 v[68:71], v[40:41], off offset:1536
	global_load_b128 v[128:131], v[40:41], off offset:3072
	s_waitcnt vmcnt(10) lgkmcnt(0)
	v_mul_f64 v[38:39], v[66:67], v[4:5]
	v_mul_f64 v[4:5], v[64:65], v[4:5]
	s_delay_alu instid0(VALU_DEP_2) | instskip(NEXT) | instid1(VALU_DEP_2)
	v_fma_f64 v[64:65], v[64:65], v[2:3], -v[38:39]
	v_fma_f64 v[66:67], v[66:67], v[2:3], v[4:5]
	v_add_co_u32 v38, s1, 0x4000, v0
	s_delay_alu instid0(VALU_DEP_1)
	v_add_co_ci_u32_e64 v39, s1, 0, v1, s1
	global_load_b128 v[2:5], v[38:39], off offset:512
	ds_store_b128 v244, v[64:67]
	ds_load_b128 v[64:67], v255 offset:1536
	ds_load_b128 v[176:179], v255 offset:3072
	s_waitcnt vmcnt(10) lgkmcnt(1)
	v_mul_f64 v[40:41], v[66:67], v[8:9]
	v_mul_f64 v[8:9], v[64:65], v[8:9]
	s_waitcnt vmcnt(9) lgkmcnt(0)
	v_mul_f64 v[42:43], v[178:179], v[12:13]
	v_mul_f64 v[12:13], v[176:177], v[12:13]
	s_delay_alu instid0(VALU_DEP_4) | instskip(NEXT) | instid1(VALU_DEP_4)
	v_fma_f64 v[64:65], v[64:65], v[6:7], -v[40:41]
	v_fma_f64 v[66:67], v[66:67], v[6:7], v[8:9]
	ds_load_b128 v[6:9], v255 offset:4608
	ds_load_b128 v[245:248], v255 offset:6144
	v_fma_f64 v[176:177], v[176:177], v[10:11], -v[42:43]
	v_fma_f64 v[178:179], v[178:179], v[10:11], v[12:13]
	s_waitcnt vmcnt(8) lgkmcnt(1)
	v_mul_f64 v[10:11], v[8:9], v[16:17]
	v_mul_f64 v[12:13], v[6:7], v[16:17]
	s_waitcnt vmcnt(7) lgkmcnt(0)
	v_mul_f64 v[40:41], v[247:248], v[20:21]
	v_mul_f64 v[20:21], v[245:246], v[20:21]
	s_delay_alu instid0(VALU_DEP_4) | instskip(NEXT) | instid1(VALU_DEP_4)
	v_fma_f64 v[6:7], v[6:7], v[14:15], -v[10:11]
	v_fma_f64 v[8:9], v[8:9], v[14:15], v[12:13]
	ds_load_b128 v[10:13], v255 offset:7680
	ds_load_b128 v[14:17], v255 offset:9216
	v_fma_f64 v[245:246], v[245:246], v[18:19], -v[40:41]
	v_fma_f64 v[247:248], v[247:248], v[18:19], v[20:21]
	;; [unrolled: 13-line block ×4, first 2 shown]
	s_waitcnt vmcnt(2) lgkmcnt(1)
	v_mul_f64 v[34:35], v[28:29], v[70:71]
	v_mul_f64 v[36:37], v[26:27], v[70:71]
	s_waitcnt vmcnt(1) lgkmcnt(0)
	v_mul_f64 v[42:43], v[30:31], v[130:131]
	v_mul_f64 v[40:41], v[32:33], v[130:131]
	s_delay_alu instid0(VALU_DEP_4) | instskip(NEXT) | instid1(VALU_DEP_4)
	v_fma_f64 v[26:27], v[26:27], v[68:69], -v[34:35]
	v_fma_f64 v[28:29], v[28:29], v[68:69], v[36:37]
	ds_load_b128 v[34:37], v255 offset:16896
	v_fma_f64 v[32:33], v[32:33], v[128:129], v[42:43]
	v_add_co_u32 v42, s1, 0x5000, v0
	s_delay_alu instid0(VALU_DEP_1)
	v_add_co_ci_u32_e64 v43, s1, 0, v1, s1
	global_load_b128 v[68:71], v[38:39], off offset:3584
	v_fma_f64 v[30:31], v[30:31], v[128:129], -v[40:41]
	ds_load_b128 v[128:131], v255 offset:18432
	global_load_b128 v[249:252], v[42:43], off offset:1024
	v_or_b32_e32 v40, 0x4800, v255
	s_waitcnt vmcnt(2) lgkmcnt(1)
	v_mul_f64 v[38:39], v[36:37], v[4:5]
	v_mul_f64 v[4:5], v[34:35], v[4:5]
	s_delay_alu instid0(VALU_DEP_2) | instskip(NEXT) | instid1(VALU_DEP_2)
	v_fma_f64 v[34:35], v[34:35], v[2:3], -v[38:39]
	v_fma_f64 v[36:37], v[36:37], v[2:3], v[4:5]
	global_load_b128 v[2:5], v40, s[2:3]
	s_waitcnt vmcnt(0) lgkmcnt(0)
	v_mul_f64 v[0:1], v[130:131], v[4:5]
	v_mul_f64 v[4:5], v[128:129], v[4:5]
	s_delay_alu instid0(VALU_DEP_2) | instskip(NEXT) | instid1(VALU_DEP_2)
	v_fma_f64 v[0:1], v[128:129], v[2:3], -v[0:1]
	v_fma_f64 v[2:3], v[130:131], v[2:3], v[4:5]
	ds_load_b128 v[128:131], v255 offset:19968
	ds_load_b128 v[38:41], v255 offset:21504
	s_waitcnt lgkmcnt(1)
	v_mul_f64 v[4:5], v[130:131], v[70:71]
	v_mul_f64 v[44:45], v[128:129], v[70:71]
	s_delay_alu instid0(VALU_DEP_2) | instskip(SKIP_2) | instid1(VALU_DEP_3)
	v_fma_f64 v[128:129], v[128:129], v[68:69], -v[4:5]
	s_waitcnt lgkmcnt(0)
	v_mul_f64 v[4:5], v[40:41], v[251:252]
	v_fma_f64 v[130:131], v[130:131], v[68:69], v[44:45]
	v_mul_f64 v[44:45], v[38:39], v[251:252]
	global_load_b128 v[68:71], v[42:43], off offset:2560
	v_fma_f64 v[38:39], v[38:39], v[249:250], -v[4:5]
	v_or_b32_e32 v4, 0x6000, v255
	v_fma_f64 v[40:41], v[40:41], v[249:250], v[44:45]
	global_load_b128 v[249:252], v4, s[2:3]
	ds_load_b128 v[42:45], v255 offset:23040
	ds_load_b128 v[46:49], v255 offset:24576
	s_waitcnt vmcnt(1) lgkmcnt(1)
	v_mul_f64 v[4:5], v[44:45], v[70:71]
	v_mul_f64 v[50:51], v[42:43], v[70:71]
	s_delay_alu instid0(VALU_DEP_2) | instskip(NEXT) | instid1(VALU_DEP_2)
	v_fma_f64 v[42:43], v[42:43], v[68:69], -v[4:5]
	v_fma_f64 v[44:45], v[44:45], v[68:69], v[50:51]
	s_waitcnt vmcnt(0) lgkmcnt(0)
	v_mul_f64 v[4:5], v[48:49], v[251:252]
	v_mul_f64 v[50:51], v[46:47], v[251:252]
	s_delay_alu instid0(VALU_DEP_2) | instskip(NEXT) | instid1(VALU_DEP_2)
	v_fma_f64 v[46:47], v[46:47], v[249:250], -v[4:5]
	v_fma_f64 v[48:49], v[48:49], v[249:250], v[50:51]
	ds_store_b128 v255, v[64:67] offset:1536
	ds_store_b128 v255, v[176:179] offset:3072
	;; [unrolled: 1-line block ×16, first 2 shown]
.LBB0_13:
	s_or_b32 exec_lo, exec_lo, s10
	s_waitcnt lgkmcnt(0)
	s_barrier
	buffer_gl0_inv
	s_and_saveexec_b32 s1, vcc_lo
	s_cbranch_execz .LBB0_15
; %bb.14:
	ds_load_b128 v[180:183], v244
	ds_load_b128 v[240:243], v244 offset:1536
	ds_load_b128 v[236:239], v244 offset:3072
	;; [unrolled: 1-line block ×16, first 2 shown]
.LBB0_15:
	s_or_b32 exec_lo, exec_lo, s1
	s_waitcnt lgkmcnt(0)
	v_add_f64 v[34:35], v[242:243], -v[174:175]
	s_mov_b32 s16, 0x5d8e7cdc
	s_mov_b32 s17, 0xbfd71e95
	v_add_f64 v[32:33], v[172:173], v[240:241]
	v_add_f64 v[16:17], v[238:239], -v[186:187]
	s_mov_b32 s2, 0x370991
	s_mov_b32 s18, 0x2a9d6da3
	;; [unrolled: 1-line block ×4, first 2 shown]
	v_add_f64 v[245:246], v[236:237], v[184:185]
	v_add_f64 v[36:37], v[174:175], v[242:243]
	s_mov_b32 s10, 0x75d4884
	s_mov_b32 s11, 0x3fe7a5f6
	v_add_f64 v[38:39], v[240:241], -v[172:173]
	v_add_f64 v[251:252], v[238:239], v[186:187]
	v_add_f64 v[10:11], v[236:237], -v[184:185]
	v_add_f64 v[18:19], v[234:235], -v[194:195]
	s_mov_b32 s30, 0x7c9e640b
	s_mov_b32 s31, 0xbfeca52d
	v_add_f64 v[249:250], v[192:193], v[232:233]
	v_add_f64 v[169:170], v[194:195], v[234:235]
	s_mov_b32 s14, 0x2b2883cd
	s_mov_b32 s15, 0x3fdc86fa
	v_add_f64 v[14:15], v[232:233], -v[192:193]
	v_add_f64 v[20:21], v[230:231], -v[190:191]
	s_mov_b32 s40, 0xeb564b22
	s_mov_b32 s41, 0xbfefdd0d
	v_add_f64 v[253:254], v[188:189], v[228:229]
	v_add_f64 v[128:129], v[190:191], v[230:231]
	s_mov_b32 s20, 0x3259b75e
	s_mov_b32 s21, 0x3fb79ee6
	v_add_f64 v[12:13], v[228:229], -v[188:189]
	v_add_f64 v[24:25], v[222:223], -v[198:199]
	s_mov_b32 s42, 0x923c349f
	s_mov_b32 s43, 0xbfeec746
	v_add_f64 v[130:131], v[220:221], v[196:197]
	v_add_f64 v[64:65], v[222:223], v[198:199]
	s_mov_b32 s22, 0xc61f0d01
	v_mul_f64 v[56:57], v[34:35], s[16:17]
	s_mov_b32 s23, 0xbfd183b1
	v_add_f64 v[22:23], v[220:221], -v[196:197]
	v_add_f64 v[28:29], v[226:227], -v[202:203]
	v_mul_f64 v[60:61], v[16:17], s[18:19]
	v_add_f64 v[66:67], v[200:201], v[224:225]
	v_add_f64 v[70:71], v[202:203], v[226:227]
	s_mov_b32 s24, 0x6ed5f1bb
	s_mov_b32 s25, 0xbfe348c8
	v_add_f64 v[26:27], v[224:225], -v[200:201]
	v_mul_f64 v[58:59], v[36:37], s[2:3]
	v_add_f64 v[54:55], v[210:211], -v[206:207]
	s_mov_b32 s38, 0x4363dd80
	s_mov_b32 s39, 0xbfe0d888
	v_mul_f64 v[62:63], v[251:252], s[10:11]
	s_mov_b32 s26, 0x910ea3b9
	v_mul_f64 v[72:73], v[18:19], s[30:31]
	s_mov_b32 s27, 0xbfeb34fa
	v_add_f64 v[30:31], v[208:209], -v[204:205]
	v_add_f64 v[8:9], v[218:219], -v[214:215]
	v_mul_f64 v[74:75], v[169:170], s[14:15]
	s_mov_b32 s36, 0xacd6c6b4
	s_mov_b32 s37, 0xbfc7851a
	;; [unrolled: 1-line block ×3, first 2 shown]
	v_mul_f64 v[76:77], v[20:21], s[40:41]
	s_mov_b32 s29, 0xbfef7484
	v_add_f64 v[68:69], v[216:217], -v[212:213]
	v_mul_f64 v[78:79], v[128:129], s[20:21]
	s_barrier
	buffer_gl0_inv
	v_mul_f64 v[80:81], v[24:25], s[42:43]
	v_mul_f64 v[84:85], v[64:65], s[22:23]
	v_fma_f64 v[0:1], v[32:33], s[2:3], -v[56:57]
	v_mul_f64 v[82:83], v[28:29], s[34:35]
	v_fma_f64 v[2:3], v[245:246], s[10:11], -v[60:61]
	v_mul_f64 v[88:89], v[70:71], s[24:25]
	v_mul_f64 v[86:87], v[54:55], s[38:39]
	v_fma_f64 v[4:5], v[10:11], s[18:19], v[62:63]
	v_mul_f64 v[90:91], v[8:9], s[36:37]
	v_add_f64 v[0:1], v[180:181], v[0:1]
	s_delay_alu instid0(VALU_DEP_1) | instskip(SKIP_1) | instid1(VALU_DEP_1)
	v_add_f64 v[0:1], v[2:3], v[0:1]
	v_fma_f64 v[2:3], v[38:39], s[16:17], v[58:59]
	v_add_f64 v[2:3], v[182:183], v[2:3]
	s_delay_alu instid0(VALU_DEP_1) | instskip(SKIP_1) | instid1(VALU_DEP_1)
	v_add_f64 v[2:3], v[4:5], v[2:3]
	v_fma_f64 v[4:5], v[249:250], s[14:15], -v[72:73]
	v_add_f64 v[0:1], v[4:5], v[0:1]
	v_fma_f64 v[4:5], v[14:15], s[30:31], v[74:75]
	s_delay_alu instid0(VALU_DEP_1) | instskip(SKIP_1) | instid1(VALU_DEP_1)
	v_add_f64 v[2:3], v[4:5], v[2:3]
	v_fma_f64 v[4:5], v[253:254], s[20:21], -v[76:77]
	v_add_f64 v[0:1], v[4:5], v[0:1]
	v_fma_f64 v[4:5], v[12:13], s[40:41], v[78:79]
	;; [unrolled: 5-line block ×4, first 2 shown]
	s_delay_alu instid0(VALU_DEP_1) | instskip(SKIP_1) | instid1(VALU_DEP_1)
	v_add_f64 v[6:7], v[0:1], v[2:3]
	v_add_f64 v[0:1], v[208:209], v[204:205]
	v_fma_f64 v[2:3], v[0:1], s[26:27], -v[86:87]
	s_delay_alu instid0(VALU_DEP_1) | instskip(SKIP_1) | instid1(VALU_DEP_1)
	v_add_f64 v[40:41], v[2:3], v[4:5]
	v_add_f64 v[2:3], v[210:211], v[206:207]
	v_mul_f64 v[92:93], v[2:3], s[26:27]
	s_delay_alu instid0(VALU_DEP_1) | instskip(NEXT) | instid1(VALU_DEP_1)
	v_fma_f64 v[4:5], v[30:31], s[38:39], v[92:93]
	v_add_f64 v[42:43], v[4:5], v[6:7]
	v_add_f64 v[4:5], v[216:217], v[212:213]
	s_delay_alu instid0(VALU_DEP_1) | instskip(NEXT) | instid1(VALU_DEP_1)
	v_fma_f64 v[6:7], v[4:5], s[28:29], -v[90:91]
	v_add_f64 v[176:177], v[6:7], v[40:41]
	v_add_f64 v[6:7], v[218:219], v[214:215]
	s_delay_alu instid0(VALU_DEP_1) | instskip(NEXT) | instid1(VALU_DEP_1)
	v_mul_f64 v[94:95], v[6:7], s[28:29]
	v_fma_f64 v[40:41], v[68:69], s[36:37], v[94:95]
	s_delay_alu instid0(VALU_DEP_1)
	v_add_f64 v[178:179], v[40:41], v[42:43]
	s_and_saveexec_b32 s1, vcc_lo
	s_cbranch_execz .LBB0_17
; %bb.16:
	v_add_f64 v[40:41], v[182:183], v[242:243]
	v_add_f64 v[42:43], v[180:181], v[240:241]
	v_mul_f64 v[48:49], v[38:39], s[34:35]
	s_mov_b32 s51, 0x3fd71e95
	s_mov_b32 s50, s16
	;; [unrolled: 1-line block ×6, first 2 shown]
	v_mul_f64 v[242:243], v[30:31], s[42:43]
	s_mov_b32 s47, 0x3fefdd0d
	s_mov_b32 s46, s40
	v_mul_f64 v[52:53], v[54:55], s[42:43]
	s_mov_b32 s53, 0x3fe9895b
	s_mov_b32 s52, s34
	;; [unrolled: 1-line block ×6, first 2 shown]
	v_mul_f64 v[96:97], v[30:31], s[40:41]
	v_mul_f64 v[100:101], v[68:69], s[38:39]
	;; [unrolled: 1-line block ×10, first 2 shown]
	v_add_f64 v[40:41], v[238:239], v[40:41]
	v_add_f64 v[42:43], v[236:237], v[42:43]
	v_fma_f64 v[50:51], v[36:37], s[24:25], v[48:49]
	v_fma_f64 v[48:49], v[36:37], s[24:25], -v[48:49]
	v_dual_mov_b32 v237, v25 :: v_dual_mov_b32 v236, v24
	v_fma_f64 v[98:99], v[2:3], s[20:21], -v[96:97]
	v_fma_f64 v[102:103], v[6:7], s[26:27], -v[100:101]
	;; [unrolled: 1-line block ×9, first 2 shown]
	v_add_f64 v[40:41], v[234:235], v[40:41]
	v_add_f64 v[42:43], v[232:233], v[42:43]
	v_dual_mov_b32 v233, v21 :: v_dual_mov_b32 v232, v20
	s_delay_alu instid0(VALU_DEP_3) | instskip(NEXT) | instid1(VALU_DEP_3)
	v_add_f64 v[40:41], v[230:231], v[40:41]
	v_add_f64 v[42:43], v[228:229], v[42:43]
	;; [unrolled: 1-line block ×4, first 2 shown]
	s_delay_alu instid0(VALU_DEP_4) | instskip(NEXT) | instid1(VALU_DEP_4)
	v_add_f64 v[40:41], v[222:223], v[40:41]
	v_add_f64 v[42:43], v[220:221], v[42:43]
	s_delay_alu instid0(VALU_DEP_2) | instskip(NEXT) | instid1(VALU_DEP_2)
	v_add_f64 v[40:41], v[226:227], v[40:41]
	v_add_f64 v[42:43], v[224:225], v[42:43]
	s_delay_alu instid0(VALU_DEP_2) | instskip(NEXT) | instid1(VALU_DEP_2)
	v_add_f64 v[40:41], v[210:211], v[40:41]
	v_add_f64 v[42:43], v[208:209], v[42:43]
	v_mul_f64 v[208:209], v[34:35], s[30:31]
	s_delay_alu instid0(VALU_DEP_3) | instskip(NEXT) | instid1(VALU_DEP_3)
	v_add_f64 v[40:41], v[218:219], v[40:41]
	v_add_f64 v[42:43], v[216:217], v[42:43]
	s_delay_alu instid0(VALU_DEP_3) | instskip(SKIP_1) | instid1(VALU_DEP_4)
	v_fma_f64 v[220:221], v[32:33], s[14:15], -v[208:209]
	v_fma_f64 v[208:209], v[32:33], s[14:15], v[208:209]
	v_add_f64 v[40:41], v[214:215], v[40:41]
	s_delay_alu instid0(VALU_DEP_4) | instskip(NEXT) | instid1(VALU_DEP_2)
	v_add_f64 v[42:43], v[212:213], v[42:43]
	v_add_f64 v[40:41], v[206:207], v[40:41]
	s_delay_alu instid0(VALU_DEP_2) | instskip(SKIP_2) | instid1(VALU_DEP_4)
	v_add_f64 v[42:43], v[204:205], v[42:43]
	v_mul_f64 v[204:205], v[34:35], s[42:43]
	v_mul_f64 v[206:207], v[34:35], s[40:41]
	v_add_f64 v[40:41], v[202:203], v[40:41]
	s_delay_alu instid0(VALU_DEP_4)
	v_add_f64 v[42:43], v[200:201], v[42:43]
	v_mul_f64 v[200:201], v[34:35], s[38:39]
	v_mul_f64 v[202:203], v[34:35], s[34:35]
	v_fma_f64 v[216:217], v[32:33], s[22:23], -v[204:205]
	v_fma_f64 v[204:205], v[32:33], s[22:23], v[204:205]
	v_fma_f64 v[218:219], v[32:33], s[20:21], -v[206:207]
	v_fma_f64 v[206:207], v[32:33], s[20:21], v[206:207]
	v_add_f64 v[40:41], v[198:199], v[40:41]
	v_add_f64 v[42:43], v[196:197], v[42:43]
	v_mul_f64 v[196:197], v[38:39], s[18:19]
	v_fma_f64 v[212:213], v[32:33], s[26:27], -v[200:201]
	v_fma_f64 v[200:201], v[32:33], s[26:27], v[200:201]
	v_fma_f64 v[214:215], v[32:33], s[24:25], -v[202:203]
	v_fma_f64 v[202:203], v[32:33], s[24:25], v[202:203]
	v_add_f64 v[204:205], v[180:181], v[204:205]
	v_add_f64 v[206:207], v[180:181], v[206:207]
	;; [unrolled: 1-line block ×4, first 2 shown]
	v_mul_f64 v[188:189], v[38:39], s[40:41]
	v_fma_f64 v[198:199], v[36:37], s[10:11], v[196:197]
	v_add_f64 v[212:213], v[180:181], v[212:213]
	v_add_f64 v[200:201], v[180:181], v[200:201]
	v_add_f64 v[202:203], v[180:181], v[202:203]
	v_add_f64 v[40:41], v[194:195], v[40:41]
	v_add_f64 v[42:43], v[192:193], v[42:43]
	v_mul_f64 v[192:193], v[38:39], s[30:31]
	v_fma_f64 v[190:191], v[36:37], s[20:21], v[188:189]
	v_fma_f64 v[188:189], v[36:37], s[20:21], -v[188:189]
	v_add_f64 v[40:41], v[186:187], v[40:41]
	v_add_f64 v[42:43], v[184:185], v[42:43]
	v_mul_f64 v[184:185], v[38:39], s[42:43]
	v_fma_f64 v[194:195], v[36:37], s[14:15], v[192:193]
	v_fma_f64 v[192:193], v[36:37], s[14:15], -v[192:193]
	v_add_f64 v[238:239], v[182:183], v[188:189]
	v_add_f64 v[44:45], v[174:175], v[40:41]
	;; [unrolled: 1-line block ×3, first 2 shown]
	v_mul_f64 v[40:41], v[38:39], s[36:37]
	v_fma_f64 v[186:187], v[36:37], s[22:23], v[184:185]
	v_fma_f64 v[184:185], v[36:37], s[22:23], -v[184:185]
	v_add_f64 v[188:189], v[182:183], v[192:193]
	scratch_store_b128 off, v[42:45], off offset:668 ; 16-byte Folded Spill
	v_mul_f64 v[44:45], v[38:39], s[38:39]
	v_fma_f64 v[42:43], v[36:37], s[28:29], v[40:41]
	v_fma_f64 v[40:41], v[36:37], s[28:29], -v[40:41]
	v_mul_f64 v[38:39], v[38:39], s[16:17]
	v_add_f64 v[234:235], v[182:183], v[184:185]
	v_mul_f64 v[184:185], v[14:15], s[38:39]
	v_fma_f64 v[46:47], v[36:37], s[26:27], v[44:45]
	v_fma_f64 v[44:45], v[36:37], s[26:27], -v[44:45]
	v_fma_f64 v[36:37], v[36:37], s[10:11], -v[196:197]
	v_mul_f64 v[196:197], v[34:35], s[36:37]
	v_mul_f64 v[34:35], v[34:35], s[18:19]
	v_add_f64 v[38:39], v[58:59], -v[38:39]
	v_add_f64 v[42:43], v[182:183], v[42:43]
	v_add_f64 v[40:41], v[182:183], v[40:41]
	;; [unrolled: 1-line block ×5, first 2 shown]
	v_fma_f64 v[210:211], v[32:33], s[28:29], -v[196:197]
	v_fma_f64 v[196:197], v[32:33], s[28:29], v[196:197]
	v_fma_f64 v[222:223], v[32:33], s[10:11], -v[34:35]
	v_fma_f64 v[224:225], v[32:33], s[10:11], v[34:35]
	v_mul_f64 v[32:33], v[32:33], s[2:3]
	v_mul_f64 v[36:37], v[10:11], s[50:51]
	v_add_f64 v[192:193], v[182:183], v[38:39]
	v_add_f64 v[210:211], v[180:181], v[210:211]
	;; [unrolled: 1-line block ×6, first 2 shown]
	v_fma_f64 v[38:39], v[251:252], s[2:3], v[36:37]
	v_fma_f64 v[36:37], v[251:252], s[2:3], -v[36:37]
	v_mul_f64 v[224:225], v[26:27], s[44:45]
	v_mul_f64 v[56:57], v[68:69], s[46:47]
	v_dual_mov_b32 v215, v55 :: v_dual_mov_b32 v214, v54
	v_fma_f64 v[54:55], v[0:1], s[22:23], -v[52:53]
	scratch_store_b64 off, v[32:33], off offset:748 ; 8-byte Folded Spill
	v_add_f64 v[32:33], v[182:183], v[186:187]
	v_add_f64 v[38:39], v[38:39], v[42:43]
	v_mul_f64 v[42:43], v[16:17], s[50:51]
	v_mul_f64 v[186:187], v[18:19], s[38:39]
	v_add_f64 v[36:37], v[36:37], v[40:41]
	v_fma_f64 v[58:59], v[6:7], s[20:21], v[56:57]
	scratch_store_b64 off, v[32:33], off offset:740 ; 8-byte Folded Spill
	v_add_f64 v[32:33], v[180:181], v[216:217]
	v_fma_f64 v[40:41], v[245:246], s[2:3], v[42:43]
	v_dual_mov_b32 v217, v17 :: v_dual_mov_b32 v216, v16
	scratch_store_b64 off, v[32:33], off offset:732 ; 8-byte Folded Spill
	v_add_f64 v[32:33], v[182:183], v[190:191]
	v_add_f64 v[190:191], v[180:181], v[208:209]
	v_mul_f64 v[208:209], v[20:21], s[48:49]
	v_add_f64 v[40:41], v[40:41], v[196:197]
	scratch_store_b64 off, v[32:33], off offset:724 ; 8-byte Folded Spill
	v_add_f64 v[32:33], v[180:181], v[218:219]
	v_dual_mov_b32 v219, v19 :: v_dual_mov_b32 v218, v18
	scratch_store_b64 off, v[32:33], off offset:716 ; 8-byte Folded Spill
	v_add_f64 v[32:33], v[182:183], v[194:195]
	v_add_f64 v[194:195], v[180:181], v[226:227]
	v_mul_f64 v[226:227], v[28:29], s[44:45]
	scratch_store_b64 off, v[32:33], off offset:708 ; 8-byte Folded Spill
	v_add_f64 v[32:33], v[180:181], v[220:221]
	scratch_store_b64 off, v[32:33], off offset:700 ; 8-byte Folded Spill
	v_add_f64 v[32:33], v[182:183], v[198:199]
	v_fma_f64 v[182:183], v[169:170], s[26:27], v[184:185]
	v_mul_f64 v[198:199], v[12:13], s[48:49]
	scratch_store_b64 off, v[32:33], off offset:692 ; 8-byte Folded Spill
	v_add_f64 v[32:33], v[180:181], v[222:223]
	v_fma_f64 v[180:181], v[245:246], s[2:3], -v[42:43]
	v_add_f64 v[38:39], v[182:183], v[38:39]
	v_fma_f64 v[182:183], v[249:250], s[26:27], -v[186:187]
	v_fma_f64 v[42:43], v[169:170], s[26:27], -v[184:185]
	v_mul_f64 v[222:223], v[24:25], s[34:35]
	scratch_store_b64 off, v[32:33], off offset:684 ; 8-byte Folded Spill
	v_add_f64 v[180:181], v[180:181], v[210:211]
	v_mul_f64 v[210:211], v[22:23], s[34:35]
	v_add_f64 v[36:37], v[42:43], v[36:37]
	v_fma_f64 v[42:43], v[249:250], s[26:27], v[186:187]
	s_delay_alu instid0(VALU_DEP_4) | instskip(SKIP_1) | instid1(VALU_DEP_3)
	v_add_f64 v[180:181], v[182:183], v[180:181]
	v_fma_f64 v[182:183], v[128:129], s[10:11], v[198:199]
	v_add_f64 v[40:41], v[42:43], v[40:41]
	v_fma_f64 v[42:43], v[128:129], s[10:11], -v[198:199]
	s_delay_alu instid0(VALU_DEP_3) | instskip(SKIP_1) | instid1(VALU_DEP_3)
	v_add_f64 v[38:39], v[182:183], v[38:39]
	v_fma_f64 v[182:183], v[253:254], s[10:11], -v[208:209]
	v_add_f64 v[36:37], v[42:43], v[36:37]
	v_fma_f64 v[42:43], v[253:254], s[10:11], v[208:209]
	s_delay_alu instid0(VALU_DEP_3) | instskip(SKIP_1) | instid1(VALU_DEP_3)
	v_add_f64 v[180:181], v[182:183], v[180:181]
	v_fma_f64 v[182:183], v[64:65], s[24:25], v[210:211]
	v_add_f64 v[40:41], v[42:43], v[40:41]
	v_fma_f64 v[42:43], v[64:65], s[24:25], -v[210:211]
	s_delay_alu instid0(VALU_DEP_3) | instskip(SKIP_1) | instid1(VALU_DEP_3)
	v_add_f64 v[38:39], v[182:183], v[38:39]
	v_fma_f64 v[182:183], v[130:131], s[24:25], -v[222:223]
	v_add_f64 v[36:37], v[42:43], v[36:37]
	v_fma_f64 v[42:43], v[130:131], s[24:25], v[222:223]
	s_delay_alu instid0(VALU_DEP_3) | instskip(SKIP_1) | instid1(VALU_DEP_3)
	v_add_f64 v[180:181], v[182:183], v[180:181]
	v_fma_f64 v[182:183], v[70:71], s[14:15], v[224:225]
	v_add_f64 v[40:41], v[42:43], v[40:41]
	v_fma_f64 v[42:43], v[70:71], s[14:15], -v[224:225]
	v_mul_f64 v[224:225], v[68:69], s[42:43]
	s_delay_alu instid0(VALU_DEP_4) | instskip(SKIP_1) | instid1(VALU_DEP_4)
	v_add_f64 v[38:39], v[182:183], v[38:39]
	v_fma_f64 v[182:183], v[66:67], s[14:15], -v[226:227]
	v_add_f64 v[36:37], v[42:43], v[36:37]
	v_fma_f64 v[42:43], v[66:67], s[14:15], v[226:227]
	v_mul_f64 v[226:227], v[8:9], s[42:43]
	s_delay_alu instid0(VALU_DEP_4) | instskip(SKIP_1) | instid1(VALU_DEP_4)
	v_add_f64 v[180:181], v[182:183], v[180:181]
	v_fma_f64 v[182:183], v[2:3], s[22:23], v[242:243]
	v_add_f64 v[40:41], v[42:43], v[40:41]
	v_fma_f64 v[42:43], v[2:3], s[22:23], -v[242:243]
	v_mul_f64 v[242:243], v[214:215], s[44:45]
	v_add_f64 v[54:55], v[54:55], v[180:181]
	v_add_f64 v[38:39], v[182:183], v[38:39]
	s_delay_alu instid0(VALU_DEP_4) | instskip(SKIP_1) | instid1(VALU_DEP_3)
	v_add_f64 v[36:37], v[42:43], v[36:37]
	v_fma_f64 v[42:43], v[0:1], s[22:23], v[52:53]
	v_add_f64 v[182:183], v[58:59], v[38:39]
	v_mul_f64 v[38:39], v[8:9], s[46:47]
	s_delay_alu instid0(VALU_DEP_3) | instskip(SKIP_1) | instid1(VALU_DEP_3)
	v_add_f64 v[40:41], v[42:43], v[40:41]
	v_fma_f64 v[42:43], v[6:7], s[20:21], -v[56:57]
	v_fma_f64 v[58:59], v[4:5], s[20:21], -v[38:39]
	v_fma_f64 v[38:39], v[4:5], s[20:21], v[38:39]
	s_delay_alu instid0(VALU_DEP_3) | instskip(SKIP_1) | instid1(VALU_DEP_4)
	v_add_f64 v[186:187], v[42:43], v[36:37]
	v_mul_f64 v[42:43], v[16:17], s[44:45]
	v_add_f64 v[180:181], v[58:59], v[54:55]
	s_delay_alu instid0(VALU_DEP_4) | instskip(SKIP_1) | instid1(VALU_DEP_4)
	v_add_f64 v[184:185], v[38:39], v[40:41]
	v_mul_f64 v[40:41], v[10:11], s[44:45]
	v_fma_f64 v[38:39], v[245:246], s[14:15], -v[42:43]
	v_fma_f64 v[42:43], v[245:246], s[14:15], v[42:43]
	s_delay_alu instid0(VALU_DEP_3) | instskip(SKIP_1) | instid1(VALU_DEP_4)
	v_fma_f64 v[36:37], v[251:252], s[14:15], v[40:41]
	v_fma_f64 v[40:41], v[251:252], s[14:15], -v[40:41]
	v_add_f64 v[38:39], v[38:39], v[212:213]
	s_delay_alu instid0(VALU_DEP_4) | instskip(SKIP_4) | instid1(VALU_DEP_4)
	v_add_f64 v[42:43], v[42:43], v[200:201]
	v_mul_f64 v[200:201], v[26:27], s[34:35]
	v_add_f64 v[36:37], v[36:37], v[46:47]
	v_mul_f64 v[46:47], v[14:15], s[40:41]
	v_add_f64 v[40:41], v[40:41], v[44:45]
	v_add_f64 v[200:201], v[88:89], -v[200:201]
	v_mul_f64 v[88:89], v[22:23], s[48:49]
	s_delay_alu instid0(VALU_DEP_4) | instskip(SKIP_2) | instid1(VALU_DEP_3)
	v_fma_f64 v[52:53], v[169:170], s[20:21], v[46:47]
	v_fma_f64 v[44:45], v[169:170], s[20:21], -v[46:47]
	v_fma_f64 v[46:47], v[4:5], s[22:23], v[226:227]
	v_add_f64 v[36:37], v[52:53], v[36:37]
	v_mul_f64 v[52:53], v[18:19], s[40:41]
	s_delay_alu instid0(VALU_DEP_4) | instskip(NEXT) | instid1(VALU_DEP_2)
	v_add_f64 v[40:41], v[44:45], v[40:41]
	v_fma_f64 v[54:55], v[249:250], s[20:21], -v[52:53]
	v_fma_f64 v[44:45], v[249:250], s[20:21], v[52:53]
	v_mul_f64 v[52:53], v[14:15], s[30:31]
	s_delay_alu instid0(VALU_DEP_3) | instskip(SKIP_1) | instid1(VALU_DEP_4)
	v_add_f64 v[38:39], v[54:55], v[38:39]
	v_mul_f64 v[54:55], v[12:13], s[52:53]
	v_add_f64 v[42:43], v[44:45], v[42:43]
	s_delay_alu instid0(VALU_DEP_4) | instskip(NEXT) | instid1(VALU_DEP_3)
	v_add_f64 v[52:53], v[74:75], -v[52:53]
	v_fma_f64 v[56:57], v[128:129], s[24:25], v[54:55]
	v_fma_f64 v[44:45], v[128:129], s[24:25], -v[54:55]
	v_mul_f64 v[54:55], v[249:250], s[14:15]
	s_delay_alu instid0(VALU_DEP_3) | instskip(SKIP_1) | instid1(VALU_DEP_4)
	v_add_f64 v[36:37], v[56:57], v[36:37]
	v_mul_f64 v[56:57], v[20:21], s[52:53]
	v_add_f64 v[40:41], v[44:45], v[40:41]
	s_delay_alu instid0(VALU_DEP_4) | instskip(SKIP_1) | instid1(VALU_DEP_4)
	v_add_f64 v[54:55], v[54:55], v[72:73]
	v_mul_f64 v[72:73], v[10:11], s[34:35]
	v_fma_f64 v[58:59], v[253:254], s[24:25], -v[56:57]
	v_fma_f64 v[44:45], v[253:254], s[24:25], v[56:57]
	v_mul_f64 v[56:57], v[12:13], s[40:41]
	s_delay_alu instid0(VALU_DEP_4) | instskip(NEXT) | instid1(VALU_DEP_4)
	v_fma_f64 v[74:75], v[251:252], s[24:25], -v[72:73]
	v_add_f64 v[38:39], v[58:59], v[38:39]
	v_mul_f64 v[58:59], v[22:23], s[16:17]
	v_add_f64 v[42:43], v[44:45], v[42:43]
	v_add_f64 v[56:57], v[78:79], -v[56:57]
	v_add_f64 v[74:75], v[74:75], v[188:189]
	s_delay_alu instid0(VALU_DEP_4) | instskip(SKIP_2) | instid1(VALU_DEP_3)
	v_fma_f64 v[196:197], v[64:65], s[2:3], v[58:59]
	v_fma_f64 v[44:45], v[64:65], s[2:3], -v[58:59]
	v_mul_f64 v[58:59], v[253:254], s[20:21]
	v_add_f64 v[36:37], v[196:197], v[36:37]
	v_mul_f64 v[196:197], v[24:25], s[16:17]
	s_delay_alu instid0(VALU_DEP_4) | instskip(NEXT) | instid1(VALU_DEP_4)
	v_add_f64 v[40:41], v[44:45], v[40:41]
	v_add_f64 v[58:59], v[58:59], v[76:77]
	v_mul_f64 v[76:77], v[16:17], s[34:35]
	s_delay_alu instid0(VALU_DEP_4) | instskip(SKIP_3) | instid1(VALU_DEP_4)
	v_fma_f64 v[198:199], v[130:131], s[2:3], -v[196:197]
	v_fma_f64 v[44:45], v[130:131], s[2:3], v[196:197]
	v_mul_f64 v[196:197], v[22:23], s[42:43]
	s_mov_b32 s43, 0x3feec746
	v_fma_f64 v[78:79], v[245:246], s[24:25], v[76:77]
	s_delay_alu instid0(VALU_DEP_4)
	v_add_f64 v[38:39], v[198:199], v[38:39]
	v_mul_f64 v[198:199], v[26:27], s[36:37]
	v_add_f64 v[42:43], v[44:45], v[42:43]
	v_add_f64 v[196:197], v[84:85], -v[196:197]
	v_mul_f64 v[84:85], v[12:13], s[42:43]
	v_add_f64 v[78:79], v[78:79], v[190:191]
	v_fma_f64 v[208:209], v[70:71], s[28:29], v[198:199]
	v_fma_f64 v[44:45], v[70:71], s[28:29], -v[198:199]
	v_mul_f64 v[198:199], v[130:131], s[22:23]
	s_delay_alu instid0(VALU_DEP_3) | instskip(SKIP_1) | instid1(VALU_DEP_4)
	v_add_f64 v[36:37], v[208:209], v[36:37]
	v_mul_f64 v[208:209], v[28:29], s[36:37]
	v_add_f64 v[40:41], v[44:45], v[40:41]
	s_delay_alu instid0(VALU_DEP_4) | instskip(SKIP_1) | instid1(VALU_DEP_4)
	v_add_f64 v[198:199], v[198:199], v[80:81]
	v_mul_f64 v[80:81], v[14:15], s[56:57]
	v_fma_f64 v[210:211], v[66:67], s[28:29], -v[208:209]
	v_fma_f64 v[44:45], v[66:67], s[28:29], v[208:209]
	v_mul_f64 v[208:209], v[20:21], s[36:37]
	s_delay_alu instid0(VALU_DEP_3) | instskip(SKIP_1) | instid1(VALU_DEP_4)
	v_add_f64 v[38:39], v[210:211], v[38:39]
	v_mul_f64 v[210:211], v[30:31], s[48:49]
	v_add_f64 v[42:43], v[44:45], v[42:43]
	s_delay_alu instid0(VALU_DEP_2) | instskip(SKIP_3) | instid1(VALU_DEP_4)
	v_fma_f64 v[212:213], v[2:3], s[10:11], v[210:211]
	v_fma_f64 v[44:45], v[2:3], s[10:11], -v[210:211]
	v_mul_f64 v[210:211], v[22:23], s[54:55]
	v_mul_f64 v[22:23], v[22:23], s[46:47]
	v_add_f64 v[36:37], v[212:213], v[36:37]
	v_mul_f64 v[212:213], v[214:215], s[48:49]
	v_add_f64 v[40:41], v[44:45], v[40:41]
	s_delay_alu instid0(VALU_DEP_2) | instskip(SKIP_2) | instid1(VALU_DEP_3)
	v_fma_f64 v[44:45], v[0:1], s[10:11], v[212:213]
	v_fma_f64 v[222:223], v[0:1], s[10:11], -v[212:213]
	v_mul_f64 v[212:213], v[24:25], s[54:55]
	v_add_f64 v[44:45], v[44:45], v[42:43]
	v_fma_f64 v[42:43], v[6:7], s[22:23], -v[224:225]
	s_delay_alu instid0(VALU_DEP_4) | instskip(SKIP_2) | instid1(VALU_DEP_4)
	v_add_f64 v[222:223], v[222:223], v[38:39]
	v_fma_f64 v[38:39], v[6:7], s[22:23], v[224:225]
	v_mul_f64 v[224:225], v[28:29], s[42:43]
	v_add_f64 v[42:43], v[42:43], v[40:41]
	v_add_f64 v[40:41], v[46:47], v[44:45]
	v_mul_f64 v[44:45], v[10:11], s[18:19]
	v_mul_f64 v[46:47], v[245:246], s[10:11]
	v_add_f64 v[174:175], v[38:39], v[36:37]
	v_fma_f64 v[36:37], v[4:5], s[22:23], -v[226:227]
	v_mov_b32_e32 v38, v159
	v_mov_b32_e32 v39, v171
	;; [unrolled: 1-line block ×3, first 2 shown]
	v_mul_f64 v[159:160], v[16:17], s[40:41]
	v_mul_f64 v[226:227], v[30:31], s[44:45]
	v_add_f64 v[44:45], v[62:63], -v[44:45]
	v_add_f64 v[46:47], v[46:47], v[60:61]
	v_mul_f64 v[60:61], v[68:69], s[50:51]
	v_add_f64 v[172:173], v[36:37], v[222:223]
	v_mul_f64 v[36:37], v[10:11], s[40:41]
	v_mul_f64 v[222:223], v[26:27], s[42:43]
	;; [unrolled: 1-line block ×3, first 2 shown]
	v_add_f64 v[44:45], v[44:45], v[192:193]
	v_add_f64 v[46:47], v[46:47], v[194:195]
	v_mul_f64 v[192:193], v[66:67], s[24:25]
	s_delay_alu instid0(VALU_DEP_3) | instskip(NEXT) | instid1(VALU_DEP_3)
	v_add_f64 v[44:45], v[52:53], v[44:45]
	v_add_f64 v[46:47], v[54:55], v[46:47]
	v_mul_f64 v[52:53], v[30:31], s[38:39]
	s_delay_alu instid0(VALU_DEP_4)
	v_add_f64 v[192:193], v[192:193], v[82:83]
	v_mul_f64 v[54:55], v[0:1], s[26:27]
	v_fma_f64 v[82:83], v[169:170], s[28:29], -v[80:81]
	v_add_f64 v[44:45], v[56:57], v[44:45]
	v_add_f64 v[46:47], v[58:59], v[46:47]
	v_add_f64 v[52:53], v[92:93], -v[52:53]
	v_mul_f64 v[56:57], v[68:69], s[36:37]
	v_add_f64 v[54:55], v[54:55], v[86:87]
	v_mul_f64 v[58:59], v[4:5], s[28:29]
	v_add_f64 v[74:75], v[82:83], v[74:75]
	v_mul_f64 v[82:83], v[18:19], s[56:57]
	v_fma_f64 v[86:87], v[128:129], s[22:23], -v[84:85]
	v_mul_f64 v[92:93], v[26:27], s[16:17]
	v_add_f64 v[44:45], v[196:197], v[44:45]
	v_add_f64 v[46:47], v[198:199], v[46:47]
	v_add_f64 v[56:57], v[94:95], -v[56:57]
	v_add_f64 v[58:59], v[58:59], v[90:91]
	v_fma_f64 v[90:91], v[64:65], s[10:11], -v[88:89]
	v_fma_f64 v[188:189], v[249:250], s[28:29], v[82:83]
	v_add_f64 v[74:75], v[86:87], v[74:75]
	v_mul_f64 v[86:87], v[20:21], s[42:43]
	v_fma_f64 v[94:95], v[70:71], s[2:3], -v[92:93]
	v_mul_f64 v[20:21], v[18:19], s[42:43]
	v_add_f64 v[44:45], v[200:201], v[44:45]
	v_add_f64 v[46:47], v[192:193], v[46:47]
	v_mul_f64 v[200:201], v[12:13], s[36:37]
	v_mul_f64 v[12:13], v[12:13], s[38:39]
	v_add_f64 v[78:79], v[188:189], v[78:79]
	v_add_f64 v[74:75], v[90:91], v[74:75]
	v_fma_f64 v[188:189], v[253:254], s[22:23], v[86:87]
	v_mul_f64 v[90:91], v[24:25], s[48:49]
	v_add_f64 v[44:45], v[52:53], v[44:45]
	v_add_f64 v[52:53], v[54:55], v[46:47]
	v_fma_f64 v[54:55], v[251:252], s[20:21], -v[36:37]
	v_add_f64 v[74:75], v[94:95], v[74:75]
	v_add_f64 v[78:79], v[188:189], v[78:79]
	v_fma_f64 v[188:189], v[130:131], s[10:11], v[90:91]
	v_mul_f64 v[94:95], v[28:29], s[16:17]
	v_add_f64 v[46:47], v[56:57], v[44:45]
	v_fma_f64 v[56:57], v[245:246], s[20:21], v[159:160]
	v_add_f64 v[44:45], v[58:59], v[52:53]
	v_add_f64 v[48:49], v[54:55], v[48:49]
	v_dual_mov_b32 v52, v153 :: v_dual_mov_b32 v53, v154
	v_dual_mov_b32 v54, v155 :: v_dual_mov_b32 v55, v156
	v_add_f64 v[74:75], v[98:99], v[74:75]
	v_mul_f64 v[98:99], v[214:215], s[40:41]
	v_add_f64 v[78:79], v[188:189], v[78:79]
	v_fma_f64 v[188:189], v[66:67], s[2:3], v[94:95]
	v_dual_mov_b32 v156, v152 :: v_dual_mov_b32 v155, v151
	v_dual_mov_b32 v154, v150 :: v_dual_mov_b32 v153, v149
	;; [unrolled: 1-line block ×8, first 2 shown]
	v_mov_b32_e32 v140, v136
	v_mul_f64 v[136:137], v[30:31], s[16:17]
	v_mul_f64 v[30:31], v[30:31], s[36:37]
	v_add_f64 v[50:51], v[56:57], v[50:51]
	v_mul_f64 v[56:57], v[14:15], s[34:35]
	v_add_f64 v[190:191], v[102:103], v[74:75]
	;; [unrolled: 2-line block ×3, first 2 shown]
	v_fma_f64 v[188:189], v[0:1], s[20:21], v[98:99]
	v_fma_f64 v[138:139], v[2:3], s[2:3], -v[136:137]
	v_fma_f64 v[58:59], v[169:170], s[24:25], -v[56:57]
	v_fma_f64 v[102:103], v[4:5], s[26:27], v[74:75]
	s_delay_alu instid0(VALU_DEP_4) | instskip(NEXT) | instid1(VALU_DEP_3)
	v_add_f64 v[78:79], v[188:189], v[78:79]
	v_add_f64 v[48:49], v[58:59], v[48:49]
	v_mul_f64 v[58:59], v[18:19], s[34:35]
	s_delay_alu instid0(VALU_DEP_3) | instskip(SKIP_1) | instid1(VALU_DEP_3)
	v_add_f64 v[188:189], v[102:103], v[78:79]
	v_mul_f64 v[78:79], v[10:11], s[36:37]
	v_fma_f64 v[192:193], v[249:250], s[24:25], v[58:59]
	s_delay_alu instid0(VALU_DEP_2) | instskip(NEXT) | instid1(VALU_DEP_2)
	v_fma_f64 v[102:103], v[251:252], s[28:29], -v[78:79]
	v_add_f64 v[50:51], v[192:193], v[50:51]
	v_fma_f64 v[192:193], v[128:129], s[28:29], -v[200:201]
	s_delay_alu instid0(VALU_DEP_3) | instskip(SKIP_1) | instid1(VALU_DEP_3)
	v_add_f64 v[102:103], v[102:103], v[238:239]
	v_mul_f64 v[238:239], v[16:17], s[36:37]
	v_add_f64 v[48:49], v[192:193], v[48:49]
	v_fma_f64 v[192:193], v[253:254], s[28:29], v[208:209]
	s_delay_alu instid0(VALU_DEP_1) | instskip(SKIP_1) | instid1(VALU_DEP_1)
	v_add_f64 v[50:51], v[192:193], v[50:51]
	v_fma_f64 v[192:193], v[64:65], s[26:27], -v[210:211]
	v_add_f64 v[48:49], v[192:193], v[48:49]
	v_fma_f64 v[192:193], v[130:131], s[26:27], v[212:213]
	s_delay_alu instid0(VALU_DEP_1) | instskip(SKIP_1) | instid1(VALU_DEP_1)
	v_add_f64 v[50:51], v[192:193], v[50:51]
	v_fma_f64 v[192:193], v[70:71], s[22:23], -v[222:223]
	;; [unrolled: 5-line block ×4, first 2 shown]
	v_add_f64 v[50:51], v[50:51], v[48:49]
	v_fma_f64 v[48:49], v[4:5], s[2:3], v[62:63]
	s_delay_alu instid0(VALU_DEP_1) | instskip(SKIP_1) | instid1(VALU_DEP_1)
	v_add_f64 v[48:49], v[48:49], v[192:193]
	v_fma_f64 v[192:193], v[245:246], s[28:29], v[238:239]
	v_add_f64 v[192:193], v[192:193], v[206:207]
	v_mul_f64 v[206:207], v[14:15], s[42:43]
	s_delay_alu instid0(VALU_DEP_1) | instskip(NEXT) | instid1(VALU_DEP_1)
	v_fma_f64 v[194:195], v[169:170], s[22:23], -v[206:207]
	v_add_f64 v[102:103], v[194:195], v[102:103]
	v_fma_f64 v[194:195], v[249:250], s[22:23], v[20:21]
	v_fma_f64 v[20:21], v[249:250], s[22:23], -v[20:21]
	s_delay_alu instid0(VALU_DEP_3) | instskip(SKIP_1) | instid1(VALU_DEP_4)
	v_add_f64 v[102:103], v[106:107], v[102:103]
	v_mul_f64 v[106:107], v[232:233], s[50:51]
	v_add_f64 v[192:193], v[194:195], v[192:193]
	s_delay_alu instid0(VALU_DEP_3) | instskip(NEXT) | instid1(VALU_DEP_3)
	v_add_f64 v[102:103], v[110:111], v[102:103]
	v_fma_f64 v[194:195], v[253:254], s[2:3], v[106:107]
	v_mul_f64 v[110:111], v[24:25], s[30:31]
	v_mul_f64 v[24:25], v[26:27], s[38:39]
	;; [unrolled: 1-line block ×3, first 2 shown]
	s_delay_alu instid0(VALU_DEP_4) | instskip(NEXT) | instid1(VALU_DEP_4)
	v_add_f64 v[192:193], v[194:195], v[192:193]
	v_fma_f64 v[194:195], v[130:131], s[14:15], v[110:111]
	s_delay_alu instid0(VALU_DEP_1) | instskip(SKIP_2) | instid1(VALU_DEP_2)
	v_add_f64 v[192:193], v[194:195], v[192:193]
	v_fma_f64 v[194:195], v[70:71], s[26:27], -v[24:25]
	v_fma_f64 v[24:25], v[70:71], s[26:27], v[24:25]
	v_add_f64 v[102:103], v[194:195], v[102:103]
	v_fma_f64 v[194:195], v[66:67], s[26:27], v[247:248]
	s_delay_alu instid0(VALU_DEP_2) | instskip(SKIP_1) | instid1(VALU_DEP_3)
	v_add_f64 v[102:103], v[114:115], v[102:103]
	v_mul_f64 v[114:115], v[214:215], s[52:53]
	v_add_f64 v[192:193], v[194:195], v[192:193]
	s_delay_alu instid0(VALU_DEP_2) | instskip(NEXT) | instid1(VALU_DEP_1)
	v_fma_f64 v[194:195], v[0:1], s[24:25], v[114:115]
	v_add_f64 v[192:193], v[194:195], v[192:193]
	v_add_f64 v[194:195], v[118:119], v[102:103]
	v_mul_f64 v[102:103], v[8:9], s[48:49]
	s_delay_alu instid0(VALU_DEP_1) | instskip(NEXT) | instid1(VALU_DEP_1)
	v_fma_f64 v[118:119], v[4:5], s[10:11], v[102:103]
	v_add_f64 v[192:193], v[118:119], v[192:193]
	v_mul_f64 v[118:119], v[10:11], s[54:55]
	s_delay_alu instid0(VALU_DEP_1) | instskip(NEXT) | instid1(VALU_DEP_1)
	v_fma_f64 v[196:197], v[251:252], s[26:27], -v[118:119]
	v_add_f64 v[196:197], v[196:197], v[234:235]
	v_mul_f64 v[234:235], v[16:17], s[54:55]
	v_mul_f64 v[16:17], v[18:19], s[48:49]
	;; [unrolled: 1-line block ×4, first 2 shown]
	s_delay_alu instid0(VALU_DEP_4) | instskip(NEXT) | instid1(VALU_DEP_1)
	v_fma_f64 v[198:199], v[245:246], s[26:27], v[234:235]
	v_add_f64 v[198:199], v[198:199], v[204:205]
	v_mul_f64 v[204:205], v[14:15], s[48:49]
	v_mul_f64 v[14:15], v[14:15], s[16:17]
	s_delay_alu instid0(VALU_DEP_2) | instskip(NEXT) | instid1(VALU_DEP_1)
	v_fma_f64 v[32:33], v[169:170], s[10:11], -v[204:205]
	v_add_f64 v[32:33], v[32:33], v[196:197]
	v_fma_f64 v[196:197], v[249:250], s[10:11], v[16:17]
	v_fma_f64 v[16:17], v[249:250], s[10:11], -v[16:17]
	s_delay_alu instid0(VALU_DEP_3) | instskip(SKIP_1) | instid1(VALU_DEP_4)
	v_add_f64 v[32:33], v[122:123], v[32:33]
	v_mul_f64 v[122:123], v[232:233], s[30:31]
	v_add_f64 v[196:197], v[196:197], v[198:199]
	s_delay_alu instid0(VALU_DEP_3) | instskip(NEXT) | instid1(VALU_DEP_3)
	v_add_f64 v[32:33], v[126:127], v[32:33]
	v_fma_f64 v[198:199], v[253:254], s[14:15], v[122:123]
	v_mul_f64 v[126:127], v[236:237], s[36:37]
	s_delay_alu instid0(VALU_DEP_3) | instskip(NEXT) | instid1(VALU_DEP_3)
	v_add_f64 v[32:33], v[134:135], v[32:33]
	v_add_f64 v[196:197], v[198:199], v[196:197]
	s_delay_alu instid0(VALU_DEP_3) | instskip(SKIP_1) | instid1(VALU_DEP_4)
	v_fma_f64 v[198:199], v[130:131], s[28:29], v[126:127]
	v_mul_f64 v[134:135], v[28:29], s[46:47]
	v_add_f64 v[32:33], v[138:139], v[32:33]
	v_mul_f64 v[138:139], v[214:215], s[16:17]
	s_delay_alu instid0(VALU_DEP_4) | instskip(NEXT) | instid1(VALU_DEP_4)
	v_add_f64 v[196:197], v[198:199], v[196:197]
	v_fma_f64 v[198:199], v[66:67], s[20:21], v[134:135]
	s_delay_alu instid0(VALU_DEP_1) | instskip(NEXT) | instid1(VALU_DEP_4)
	v_add_f64 v[196:197], v[198:199], v[196:197]
	v_fma_f64 v[198:199], v[0:1], s[2:3], v[138:139]
	s_delay_alu instid0(VALU_DEP_1) | instskip(SKIP_2) | instid1(VALU_DEP_2)
	v_add_f64 v[196:197], v[198:199], v[196:197]
	v_fma_f64 v[198:199], v[6:7], s[24:25], -v[18:19]
	v_fma_f64 v[18:19], v[6:7], s[24:25], v[18:19]
	v_add_f64 v[198:199], v[198:199], v[32:33]
	v_mul_f64 v[32:33], v[8:9], s[34:35]
	s_delay_alu instid0(VALU_DEP_1) | instskip(NEXT) | instid1(VALU_DEP_1)
	v_fma_f64 v[34:35], v[4:5], s[24:25], v[32:33]
	v_add_f64 v[196:197], v[34:35], v[196:197]
	v_mul_f64 v[34:35], v[10:11], s[42:43]
	s_delay_alu instid0(VALU_DEP_1) | instskip(SKIP_1) | instid1(VALU_DEP_2)
	v_fma_f64 v[10:11], v[251:252], s[22:23], -v[34:35]
	v_fma_f64 v[34:35], v[251:252], s[22:23], v[34:35]
	v_add_f64 v[10:11], v[10:11], v[230:231]
	v_mul_f64 v[230:231], v[216:217], s[42:43]
	s_delay_alu instid0(VALU_DEP_3) | instskip(NEXT) | instid1(VALU_DEP_2)
	v_add_f64 v[34:35], v[34:35], v[228:229]
	v_fma_f64 v[220:221], v[245:246], s[22:23], v[230:231]
	s_delay_alu instid0(VALU_DEP_1) | instskip(SKIP_2) | instid1(VALU_DEP_2)
	v_add_f64 v[202:203], v[220:221], v[202:203]
	v_fma_f64 v[220:221], v[169:170], s[2:3], -v[14:15]
	v_fma_f64 v[14:15], v[169:170], s[2:3], v[14:15]
	v_add_f64 v[10:11], v[220:221], v[10:11]
	v_mul_f64 v[220:221], v[218:219], s[16:17]
	s_delay_alu instid0(VALU_DEP_3) | instskip(NEXT) | instid1(VALU_DEP_2)
	v_add_f64 v[14:15], v[14:15], v[34:35]
	v_fma_f64 v[240:241], v[249:250], s[2:3], v[220:221]
	v_fma_f64 v[34:35], v[249:250], s[2:3], -v[220:221]
	s_delay_alu instid0(VALU_DEP_2) | instskip(SKIP_2) | instid1(VALU_DEP_2)
	v_add_f64 v[202:203], v[240:241], v[202:203]
	v_fma_f64 v[240:241], v[128:129], s[26:27], -v[12:13]
	v_fma_f64 v[12:13], v[128:129], s[26:27], v[12:13]
	v_add_f64 v[10:11], v[240:241], v[10:11]
	v_mul_f64 v[240:241], v[232:233], s[38:39]
	s_delay_alu instid0(VALU_DEP_3) | instskip(NEXT) | instid1(VALU_DEP_2)
	v_add_f64 v[12:13], v[12:13], v[14:15]
	v_fma_f64 v[218:219], v[253:254], s[26:27], v[240:241]
	v_fma_f64 v[14:15], v[253:254], s[26:27], -v[240:241]
	s_delay_alu instid0(VALU_DEP_2) | instskip(SKIP_2) | instid1(VALU_DEP_2)
	v_add_f64 v[202:203], v[218:219], v[202:203]
	v_fma_f64 v[218:219], v[64:65], s[20:21], -v[22:23]
	v_fma_f64 v[22:23], v[64:65], s[20:21], v[22:23]
	v_add_f64 v[10:11], v[218:219], v[10:11]
	v_mul_f64 v[218:219], v[236:237], s[46:47]
	s_delay_alu instid0(VALU_DEP_3) | instskip(NEXT) | instid1(VALU_DEP_2)
	v_add_f64 v[12:13], v[22:23], v[12:13]
	v_fma_f64 v[236:237], v[130:131], s[20:21], v[218:219]
	v_fma_f64 v[22:23], v[130:131], s[20:21], -v[218:219]
	s_delay_alu instid0(VALU_DEP_2) | instskip(SKIP_1) | instid1(VALU_DEP_1)
	v_add_f64 v[202:203], v[236:237], v[202:203]
	v_fma_f64 v[236:237], v[70:71], s[10:11], -v[26:27]
	v_add_f64 v[10:11], v[236:237], v[10:11]
	v_mul_f64 v[236:237], v[28:29], s[18:19]
	scratch_load_b64 v[28:29], off, off offset:748 ; 8-byte Folded Reload
	v_fma_f64 v[216:217], v[66:67], s[10:11], v[236:237]
	s_delay_alu instid0(VALU_DEP_1) | instskip(SKIP_1) | instid1(VALU_DEP_1)
	v_add_f64 v[202:203], v[216:217], v[202:203]
	v_fma_f64 v[216:217], v[2:3], s[28:29], -v[30:31]
	v_add_f64 v[10:11], v[216:217], v[10:11]
	v_mul_f64 v[216:217], v[214:215], s[36:37]
	s_delay_alu instid0(VALU_DEP_1) | instskip(NEXT) | instid1(VALU_DEP_1)
	v_fma_f64 v[232:233], v[0:1], s[28:29], v[216:217]
	v_add_f64 v[202:203], v[232:233], v[202:203]
	v_mul_f64 v[232:233], v[8:9], s[44:45]
	v_fma_f64 v[8:9], v[6:7], s[14:15], -v[68:69]
	s_delay_alu instid0(VALU_DEP_1) | instskip(NEXT) | instid1(VALU_DEP_3)
	v_add_f64 v[10:11], v[8:9], v[10:11]
	v_fma_f64 v[8:9], v[4:5], s[14:15], v[232:233]
	s_delay_alu instid0(VALU_DEP_1) | instskip(SKIP_2) | instid1(VALU_DEP_1)
	v_add_f64 v[8:9], v[8:9], v[202:203]
	v_fma_f64 v[202:203], v[245:246], s[22:23], -v[230:231]
	s_waitcnt vmcnt(0)
	v_add_f64 v[202:203], v[202:203], v[28:29]
	scratch_load_b64 v[28:29], off, off offset:732 ; 8-byte Folded Reload
	v_add_f64 v[34:35], v[34:35], v[202:203]
	s_delay_alu instid0(VALU_DEP_1) | instskip(SKIP_4) | instid1(VALU_DEP_2)
	v_add_f64 v[14:15], v[14:15], v[34:35]
	scratch_load_b64 v[34:35], off, off offset:692 ; 8-byte Folded Reload
	v_add_f64 v[14:15], v[22:23], v[14:15]
	v_fma_f64 v[22:23], v[70:71], s[10:11], v[26:27]
	v_fma_f64 v[26:27], v[4:5], s[14:15], -v[232:233]
	v_add_f64 v[12:13], v[22:23], v[12:13]
	v_fma_f64 v[22:23], v[66:67], s[10:11], -v[236:237]
	s_delay_alu instid0(VALU_DEP_1) | instskip(SKIP_2) | instid1(VALU_DEP_2)
	v_add_f64 v[14:15], v[22:23], v[14:15]
	v_fma_f64 v[22:23], v[2:3], s[28:29], v[30:31]
	v_fma_f64 v[30:31], v[169:170], s[10:11], v[204:205]
	v_add_f64 v[12:13], v[22:23], v[12:13]
	v_fma_f64 v[22:23], v[0:1], s[28:29], -v[216:217]
	s_delay_alu instid0(VALU_DEP_1) | instskip(SKIP_1) | instid1(VALU_DEP_1)
	v_add_f64 v[22:23], v[22:23], v[14:15]
	v_fma_f64 v[14:15], v[6:7], s[14:15], v[68:69]
	v_add_f64 v[14:15], v[14:15], v[12:13]
	s_delay_alu instid0(VALU_DEP_3) | instskip(SKIP_3) | instid1(VALU_DEP_1)
	v_add_f64 v[12:13], v[26:27], v[22:23]
	scratch_load_b64 v[26:27], off, off offset:740 ; 8-byte Folded Reload
	v_fma_f64 v[22:23], v[251:252], s[26:27], v[118:119]
	s_waitcnt vmcnt(0)
	v_add_f64 v[22:23], v[22:23], v[26:27]
	v_fma_f64 v[26:27], v[245:246], s[26:27], -v[234:235]
	s_delay_alu instid0(VALU_DEP_2) | instskip(NEXT) | instid1(VALU_DEP_2)
	v_add_f64 v[22:23], v[30:31], v[22:23]
	v_add_f64 v[26:27], v[26:27], v[28:29]
	scratch_load_b64 v[28:29], off, off offset:716 ; 8-byte Folded Reload
	v_fma_f64 v[30:31], v[169:170], s[22:23], v[206:207]
	v_add_f64 v[16:17], v[16:17], v[26:27]
	v_fma_f64 v[26:27], v[128:129], s[14:15], v[120:121]
	s_delay_alu instid0(VALU_DEP_1) | instskip(SKIP_1) | instid1(VALU_DEP_1)
	v_add_f64 v[22:23], v[26:27], v[22:23]
	v_fma_f64 v[26:27], v[253:254], s[14:15], -v[122:123]
	v_add_f64 v[16:17], v[26:27], v[16:17]
	v_fma_f64 v[26:27], v[64:65], s[28:29], v[124:125]
	s_delay_alu instid0(VALU_DEP_1) | instskip(SKIP_1) | instid1(VALU_DEP_1)
	v_add_f64 v[22:23], v[26:27], v[22:23]
	v_fma_f64 v[26:27], v[130:131], s[28:29], -v[126:127]
	;; [unrolled: 5-line block ×3, first 2 shown]
	v_add_f64 v[16:17], v[26:27], v[16:17]
	v_fma_f64 v[26:27], v[2:3], s[2:3], v[136:137]
	s_delay_alu instid0(VALU_DEP_1)
	v_add_f64 v[22:23], v[26:27], v[22:23]
	v_fma_f64 v[26:27], v[0:1], s[2:3], -v[138:139]
	v_dual_mov_b32 v136, v140 :: v_dual_mov_b32 v137, v141
	v_dual_mov_b32 v138, v142 :: v_dual_mov_b32 v139, v143
	;; [unrolled: 1-line block ×8, first 2 shown]
	v_mov_b32_e32 v152, v156
	v_dual_mov_b32 v156, v55 :: v_dual_mov_b32 v153, v52
	v_dual_mov_b32 v155, v54 :: v_dual_mov_b32 v154, v53
	v_fma_f64 v[52:53], v[128:129], s[28:29], v[200:201]
	v_add_f64 v[18:19], v[18:19], v[22:23]
	v_add_f64 v[16:17], v[26:27], v[16:17]
	v_fma_f64 v[26:27], v[4:5], s[24:25], -v[32:33]
	v_fma_f64 v[22:23], v[251:252], s[28:29], v[78:79]
	v_fma_f64 v[32:33], v[169:170], s[24:25], v[56:57]
	s_delay_alu instid0(VALU_DEP_3) | instskip(SKIP_4) | instid1(VALU_DEP_2)
	v_add_f64 v[16:17], v[26:27], v[16:17]
	scratch_load_b64 v[26:27], off, off offset:724 ; 8-byte Folded Reload
	s_waitcnt vmcnt(0)
	v_add_f64 v[22:23], v[22:23], v[26:27]
	v_fma_f64 v[26:27], v[245:246], s[28:29], -v[238:239]
	v_add_f64 v[22:23], v[30:31], v[22:23]
	s_delay_alu instid0(VALU_DEP_2) | instskip(SKIP_4) | instid1(VALU_DEP_1)
	v_add_f64 v[26:27], v[26:27], v[28:29]
	scratch_load_b64 v[28:29], off, off offset:700 ; 8-byte Folded Reload
	v_fma_f64 v[30:31], v[4:5], s[26:27], -v[74:75]
	v_add_f64 v[20:21], v[20:21], v[26:27]
	v_fma_f64 v[26:27], v[128:129], s[2:3], v[104:105]
	v_add_f64 v[22:23], v[26:27], v[22:23]
	v_fma_f64 v[26:27], v[253:254], s[2:3], -v[106:107]
	s_delay_alu instid0(VALU_DEP_1) | instskip(SKIP_1) | instid1(VALU_DEP_1)
	v_add_f64 v[20:21], v[26:27], v[20:21]
	v_fma_f64 v[26:27], v[64:65], s[14:15], v[108:109]
	v_add_f64 v[22:23], v[26:27], v[22:23]
	v_fma_f64 v[26:27], v[130:131], s[14:15], -v[110:111]
	s_delay_alu instid0(VALU_DEP_2) | instskip(NEXT) | instid1(VALU_DEP_2)
	v_add_f64 v[22:23], v[24:25], v[22:23]
	v_add_f64 v[20:21], v[26:27], v[20:21]
	v_fma_f64 v[24:25], v[66:67], s[26:27], -v[247:248]
	v_fma_f64 v[26:27], v[4:5], s[10:11], -v[102:103]
	;; [unrolled: 1-line block ×3, first 2 shown]
	s_delay_alu instid0(VALU_DEP_3) | instskip(SKIP_1) | instid1(VALU_DEP_1)
	v_add_f64 v[20:21], v[24:25], v[20:21]
	v_fma_f64 v[24:25], v[2:3], s[24:25], v[112:113]
	v_add_f64 v[22:23], v[24:25], v[22:23]
	v_fma_f64 v[24:25], v[0:1], s[24:25], -v[114:115]
	s_delay_alu instid0(VALU_DEP_1) | instskip(SKIP_1) | instid1(VALU_DEP_2)
	v_add_f64 v[20:21], v[24:25], v[20:21]
	v_fma_f64 v[24:25], v[6:7], s[10:11], v[116:117]
	v_add_f64 v[20:21], v[26:27], v[20:21]
	scratch_load_b64 v[26:27], off, off offset:708 ; 8-byte Folded Reload
	v_add_f64 v[22:23], v[24:25], v[22:23]
	v_fma_f64 v[24:25], v[251:252], s[24:25], v[72:73]
	s_waitcnt vmcnt(0)
	s_delay_alu instid0(VALU_DEP_1) | instskip(SKIP_1) | instid1(VALU_DEP_1)
	v_add_f64 v[24:25], v[24:25], v[26:27]
	v_fma_f64 v[26:27], v[245:246], s[24:25], -v[76:77]
	v_add_f64 v[26:27], v[26:27], v[28:29]
	v_fma_f64 v[28:29], v[169:170], s[28:29], v[80:81]
	s_delay_alu instid0(VALU_DEP_1) | instskip(SKIP_1) | instid1(VALU_DEP_1)
	v_add_f64 v[24:25], v[28:29], v[24:25]
	v_fma_f64 v[28:29], v[249:250], s[28:29], -v[82:83]
	v_add_f64 v[26:27], v[28:29], v[26:27]
	v_fma_f64 v[28:29], v[128:129], s[22:23], v[84:85]
	;; [unrolled: 5-line block ×5, first 2 shown]
	v_fma_f64 v[2:3], v[2:3], s[14:15], v[226:227]
	s_delay_alu instid0(VALU_DEP_2) | instskip(SKIP_2) | instid1(VALU_DEP_2)
	v_add_f64 v[24:25], v[28:29], v[24:25]
	v_fma_f64 v[28:29], v[0:1], s[20:21], -v[98:99]
	v_fma_f64 v[0:1], v[0:1], s[14:15], -v[242:243]
	v_add_f64 v[28:29], v[28:29], v[26:27]
	v_fma_f64 v[26:27], v[6:7], s[26:27], v[100:101]
	v_fma_f64 v[6:7], v[6:7], s[2:3], v[60:61]
	s_delay_alu instid0(VALU_DEP_2) | instskip(NEXT) | instid1(VALU_DEP_4)
	v_add_f64 v[26:27], v[26:27], v[24:25]
	v_add_f64 v[24:25], v[30:31], v[28:29]
	v_fma_f64 v[28:29], v[251:252], s[20:21], v[36:37]
	scratch_load_b64 v[36:37], off, off offset:684 ; 8-byte Folded Reload
	v_fma_f64 v[30:31], v[245:246], s[20:21], -v[159:160]
	v_dual_mov_b32 v160, v171 :: v_dual_mov_b32 v159, v38
	v_mov_b32_e32 v171, v39
	v_add_f64 v[28:29], v[28:29], v[34:35]
	v_fma_f64 v[34:35], v[249:250], s[24:25], -v[58:59]
	s_delay_alu instid0(VALU_DEP_2) | instskip(SKIP_1) | instid1(VALU_DEP_2)
	v_add_f64 v[28:29], v[32:33], v[28:29]
	v_fma_f64 v[32:33], v[253:254], s[28:29], -v[208:209]
	v_add_f64 v[28:29], v[52:53], v[28:29]
	v_fma_f64 v[52:53], v[130:131], s[26:27], -v[212:213]
	s_waitcnt vmcnt(0)
	v_add_f64 v[30:31], v[30:31], v[36:37]
	s_delay_alu instid0(VALU_DEP_1) | instskip(SKIP_1) | instid1(VALU_DEP_2)
	v_add_f64 v[30:31], v[34:35], v[30:31]
	v_fma_f64 v[34:35], v[64:65], s[26:27], v[210:211]
	v_add_f64 v[30:31], v[32:33], v[30:31]
	s_delay_alu instid0(VALU_DEP_2) | instskip(SKIP_2) | instid1(VALU_DEP_4)
	v_add_f64 v[28:29], v[34:35], v[28:29]
	v_fma_f64 v[34:35], v[66:67], s[22:23], -v[224:225]
	v_fma_f64 v[32:33], v[70:71], s[22:23], v[222:223]
	v_add_f64 v[30:31], v[52:53], v[30:31]
	s_delay_alu instid0(VALU_DEP_2) | instskip(NEXT) | instid1(VALU_DEP_2)
	v_add_f64 v[28:29], v[32:33], v[28:29]
	v_add_f64 v[30:31], v[34:35], v[30:31]
	s_delay_alu instid0(VALU_DEP_2) | instskip(NEXT) | instid1(VALU_DEP_2)
	v_add_f64 v[2:3], v[2:3], v[28:29]
	v_add_f64 v[0:1], v[0:1], v[30:31]
	scratch_load_b128 v[28:31], off, off offset:668 ; 16-byte Folded Reload
	v_add_f64 v[2:3], v[6:7], v[2:3]
	v_add_f64 v[0:1], v[4:5], v[0:1]
	scratch_load_b32 v4, off, off offset:8  ; 4-byte Folded Reload
	s_waitcnt vmcnt(0)
	v_mul_lo_u16 v4, v4, 17
	s_delay_alu instid0(VALU_DEP_1) | instskip(NEXT) | instid1(VALU_DEP_1)
	v_and_b32_e32 v4, 0xffff, v4
	v_lshlrev_b32_e32 v4, 4, v4
	ds_store_b128 v4, v[28:31]
	ds_store_b128 v4, v[44:47] offset:16
	ds_store_b128 v4, v[48:51] offset:32
	;; [unrolled: 1-line block ×16, first 2 shown]
.LBB0_17:
	s_or_b32 exec_lo, exec_lo, s1
	s_waitcnt lgkmcnt(0)
	s_waitcnt_vscnt null, 0x0
	s_barrier
	buffer_gl0_inv
	ds_load_b128 v[0:3], v244 offset:13056
	ds_load_b128 v[4:7], v244 offset:14688
	;; [unrolled: 1-line block ×8, first 2 shown]
	s_clause 0x3
	scratch_load_b128 v[78:81], off, off offset:76
	scratch_load_b128 v[68:71], off, off offset:28
	;; [unrolled: 1-line block ×4, first 2 shown]
	s_waitcnt vmcnt(3) lgkmcnt(5)
	v_mul_f64 v[40:41], v[80:81], v[10:11]
	v_mul_f64 v[42:43], v[80:81], v[8:9]
	scratch_load_b128 v[80:83], off, off offset:92 ; 16-byte Folded Reload
	s_waitcnt vmcnt(3)
	v_mul_f64 v[32:33], v[70:71], v[2:3]
	v_mul_f64 v[34:35], v[70:71], v[0:1]
	scratch_load_b128 v[70:73], off, off offset:44 ; 16-byte Folded Reload
	s_waitcnt vmcnt(3)
	v_mul_f64 v[36:37], v[66:67], v[6:7]
	v_mul_f64 v[38:39], v[66:67], v[4:5]
	s_waitcnt vmcnt(2) lgkmcnt(1)
	v_mul_f64 v[56:57], v[76:77], v[26:27]
	v_mul_f64 v[58:59], v[76:77], v[24:25]
	v_fma_f64 v[40:41], v[78:79], v[8:9], v[40:41]
	v_fma_f64 v[42:43], v[78:79], v[10:11], -v[42:43]
	v_fma_f64 v[32:33], v[68:69], v[0:1], v[32:33]
	v_fma_f64 v[34:35], v[68:69], v[2:3], -v[34:35]
	;; [unrolled: 2-line block ×4, first 2 shown]
	s_waitcnt vmcnt(1)
	v_mul_f64 v[44:45], v[82:83], v[14:15]
	v_mul_f64 v[46:47], v[82:83], v[12:13]
	scratch_load_b128 v[82:85], off, off offset:108 ; 16-byte Folded Reload
	s_waitcnt vmcnt(1) lgkmcnt(0)
	v_mul_f64 v[60:61], v[72:73], v[30:31]
	v_mul_f64 v[62:63], v[72:73], v[28:29]
	v_fma_f64 v[44:45], v[80:81], v[12:13], v[44:45]
	v_fma_f64 v[46:47], v[80:81], v[14:15], -v[46:47]
	s_delay_alu instid0(VALU_DEP_4) | instskip(NEXT) | instid1(VALU_DEP_4)
	v_fma_f64 v[60:61], v[70:71], v[28:29], v[60:61]
	v_fma_f64 v[62:63], v[70:71], v[30:31], -v[62:63]
	s_waitcnt vmcnt(0)
	v_mul_f64 v[48:49], v[84:85], v[18:19]
	v_mul_f64 v[50:51], v[84:85], v[16:17]
	scratch_load_b128 v[84:87], off, off offset:124 ; 16-byte Folded Reload
	v_fma_f64 v[48:49], v[82:83], v[16:17], v[48:49]
	v_fma_f64 v[50:51], v[82:83], v[18:19], -v[50:51]
	s_waitcnt vmcnt(0)
	v_mul_f64 v[52:53], v[86:87], v[22:23]
	v_mul_f64 v[54:55], v[86:87], v[20:21]
	s_delay_alu instid0(VALU_DEP_2) | instskip(NEXT) | instid1(VALU_DEP_2)
	v_fma_f64 v[52:53], v[84:85], v[20:21], v[52:53]
	v_fma_f64 v[54:55], v[84:85], v[22:23], -v[54:55]
	ds_load_b128 v[0:3], v244
	ds_load_b128 v[4:7], v244 offset:1632
	ds_load_b128 v[8:11], v244 offset:3264
	;; [unrolled: 1-line block ×7, first 2 shown]
	s_waitcnt lgkmcnt(0)
	s_barrier
	buffer_gl0_inv
	v_add_f64 v[32:33], v[0:1], -v[32:33]
	v_add_f64 v[34:35], v[2:3], -v[34:35]
	v_add_f64 v[36:37], v[4:5], -v[36:37]
	v_add_f64 v[38:39], v[6:7], -v[38:39]
	v_add_f64 v[40:41], v[8:9], -v[40:41]
	v_add_f64 v[42:43], v[10:11], -v[42:43]
	v_add_f64 v[44:45], v[12:13], -v[44:45]
	v_add_f64 v[46:47], v[14:15], -v[46:47]
	v_add_f64 v[48:49], v[16:17], -v[48:49]
	v_add_f64 v[50:51], v[18:19], -v[50:51]
	v_add_f64 v[68:69], v[24:25], -v[56:57]
	v_add_f64 v[70:71], v[26:27], -v[58:59]
	v_add_f64 v[128:129], v[28:29], -v[60:61]
	v_add_f64 v[130:131], v[30:31], -v[62:63]
	v_add_f64 v[64:65], v[20:21], -v[52:53]
	scratch_load_b32 v52, off, off offset:312 ; 4-byte Folded Reload
	v_add_f64 v[66:67], v[22:23], -v[54:55]
	v_fma_f64 v[0:1], v[0:1], 2.0, -v[32:33]
	v_fma_f64 v[2:3], v[2:3], 2.0, -v[34:35]
	v_fma_f64 v[4:5], v[4:5], 2.0, -v[36:37]
	v_fma_f64 v[6:7], v[6:7], 2.0, -v[38:39]
	v_fma_f64 v[8:9], v[8:9], 2.0, -v[40:41]
	v_fma_f64 v[10:11], v[10:11], 2.0, -v[42:43]
	v_fma_f64 v[12:13], v[12:13], 2.0, -v[44:45]
	v_fma_f64 v[14:15], v[14:15], 2.0, -v[46:47]
	v_fma_f64 v[16:17], v[16:17], 2.0, -v[48:49]
	v_fma_f64 v[18:19], v[18:19], 2.0, -v[50:51]
	v_fma_f64 v[24:25], v[24:25], 2.0, -v[68:69]
	v_fma_f64 v[26:27], v[26:27], 2.0, -v[70:71]
	v_fma_f64 v[28:29], v[28:29], 2.0, -v[128:129]
	v_fma_f64 v[30:31], v[30:31], 2.0, -v[130:131]
	s_waitcnt vmcnt(0)
	ds_store_b128 v52, v[0:3]
	ds_store_b128 v52, v[32:35] offset:272
	scratch_load_b32 v0, off, off offset:324 ; 4-byte Folded Reload
	v_fma_f64 v[20:21], v[20:21], 2.0, -v[64:65]
	v_fma_f64 v[22:23], v[22:23], 2.0, -v[66:67]
	s_waitcnt vmcnt(0)
	ds_store_b128 v0, v[4:7]
	ds_store_b128 v0, v[36:39] offset:272
	scratch_load_b32 v0, off, off offset:328 ; 4-byte Folded Reload
	s_waitcnt vmcnt(0)
	ds_store_b128 v0, v[8:11]
	ds_store_b128 v0, v[40:43] offset:272
	scratch_load_b32 v0, off, off offset:320 ; 4-byte Folded Reload
	;; [unrolled: 4-line block ×6, first 2 shown]
	s_waitcnt vmcnt(0)
	ds_store_b128 v0, v[28:31]
	ds_store_b128 v0, v[128:131] offset:272
	s_waitcnt lgkmcnt(0)
	s_barrier
	buffer_gl0_inv
	ds_load_b128 v[0:3], v244 offset:13056
	ds_load_b128 v[4:7], v244 offset:14688
	;; [unrolled: 1-line block ×8, first 2 shown]
	s_clause 0x6
	scratch_load_b128 v[64:67], off, off offset:172
	scratch_load_b128 v[70:73], off, off offset:204
	;; [unrolled: 1-line block ×7, first 2 shown]
	s_waitcnt vmcnt(6) lgkmcnt(7)
	v_mul_f64 v[32:33], v[66:67], v[2:3]
	v_mul_f64 v[34:35], v[66:67], v[0:1]
	scratch_load_b128 v[66:69], off, off offset:188 ; 16-byte Folded Reload
	s_waitcnt vmcnt(6) lgkmcnt(5)
	v_mul_f64 v[40:41], v[72:73], v[10:11]
	v_mul_f64 v[42:43], v[72:73], v[8:9]
	s_waitcnt vmcnt(5) lgkmcnt(3)
	v_mul_f64 v[48:49], v[80:81], v[18:19]
	v_mul_f64 v[50:51], v[80:81], v[16:17]
	;; [unrolled: 3-line block ×5, first 2 shown]
	s_waitcnt vmcnt(1)
	v_mul_f64 v[44:45], v[76:77], v[14:15]
	v_mul_f64 v[46:47], v[76:77], v[12:13]
	v_fma_f64 v[0:1], v[64:65], v[0:1], v[32:33]
	v_fma_f64 v[2:3], v[64:65], v[2:3], -v[34:35]
	v_fma_f64 v[76:77], v[78:79], v[16:17], v[48:49]
	v_fma_f64 v[78:79], v[78:79], v[18:19], -v[50:51]
	;; [unrolled: 2-line block ×6, first 2 shown]
	s_waitcnt vmcnt(0)
	v_mul_f64 v[36:37], v[68:69], v[6:7]
	v_mul_f64 v[38:39], v[68:69], v[4:5]
	v_fma_f64 v[68:69], v[70:71], v[8:9], v[40:41]
	v_fma_f64 v[70:71], v[70:71], v[10:11], -v[42:43]
	s_delay_alu instid0(VALU_DEP_4) | instskip(NEXT) | instid1(VALU_DEP_4)
	v_fma_f64 v[64:65], v[66:67], v[4:5], v[36:37]
	v_fma_f64 v[66:67], v[66:67], v[6:7], -v[38:39]
	ds_load_b128 v[4:7], v244
	ds_load_b128 v[8:11], v244 offset:1632
	ds_load_b128 v[12:15], v244 offset:3264
	;; [unrolled: 1-line block ×7, first 2 shown]
	s_waitcnt lgkmcnt(0)
	s_barrier
	buffer_gl0_inv
	v_add_f64 v[36:37], v[4:5], -v[0:1]
	v_add_f64 v[38:39], v[6:7], -v[2:3]
	;; [unrolled: 1-line block ×15, first 2 shown]
	scratch_load_b32 v64, off, off offset:268 ; 4-byte Folded Reload
	v_add_f64 v[42:43], v[10:11], -v[66:67]
	v_fma_f64 v[4:5], v[4:5], 2.0, -v[36:37]
	v_fma_f64 v[6:7], v[6:7], 2.0, -v[38:39]
	;; [unrolled: 1-line block ×14, first 2 shown]
	s_waitcnt vmcnt(0)
	ds_store_b128 v64, v[4:7]
	ds_store_b128 v64, v[36:39] offset:544
	scratch_load_b32 v4, off, off offset:296 ; 4-byte Folded Reload
	v_fma_f64 v[8:9], v[8:9], 2.0, -v[40:41]
	v_fma_f64 v[10:11], v[10:11], 2.0, -v[42:43]
	s_waitcnt vmcnt(0)
	ds_store_b128 v4, v[8:11]
	ds_store_b128 v4, v[40:43] offset:544
	scratch_load_b32 v4, off, off offset:292 ; 4-byte Folded Reload
	s_waitcnt vmcnt(0)
	ds_store_b128 v4, v[12:15]
	ds_store_b128 v4, v[44:47] offset:544
	scratch_load_b32 v4, off, off offset:288 ; 4-byte Folded Reload
	;; [unrolled: 4-line block ×6, first 2 shown]
	s_waitcnt vmcnt(0)
	ds_store_b128 v4, v[32:35]
	ds_store_b128 v4, v[0:3] offset:544
	s_waitcnt lgkmcnt(0)
	s_barrier
	buffer_gl0_inv
	ds_load_b128 v[8:11], v244
	ds_load_b128 v[4:7], v244 offset:1632
	ds_load_b128 v[36:39], v244 offset:17408
	;; [unrolled: 1-line block ×14, first 2 shown]
	s_and_saveexec_b32 s1, s0
	s_cbranch_execz .LBB0_19
; %bb.18:
	ds_load_b128 v[0:3], v244 offset:8160
	ds_load_b128 v[176:179], v244 offset:16864
	;; [unrolled: 1-line block ×3, first 2 shown]
.LBB0_19:
	s_or_b32 exec_lo, exec_lo, s1
	s_clause 0x1
	scratch_load_b128 v[104:107], off, off offset:332
	scratch_load_b128 v[108:111], off, off offset:348
	s_mov_b32 s2, 0xe8584caa
	s_mov_b32 s3, 0xbfebb67a
	;; [unrolled: 1-line block ×4, first 2 shown]
	s_clause 0x3
	scratch_load_b128 v[114:117], off, off offset:380
	scratch_load_b128 v[120:123], off, off offset:412
	;; [unrolled: 1-line block ×4, first 2 shown]
	s_waitcnt vmcnt(5) lgkmcnt(4)
	v_mul_f64 v[64:65], v[106:107], v[62:63]
	s_waitcnt vmcnt(4)
	v_mul_f64 v[66:67], v[110:111], v[38:39]
	v_mul_f64 v[70:71], v[110:111], v[36:37]
	scratch_load_b128 v[110:113], off, off offset:364 ; 16-byte Folded Reload
	v_mul_f64 v[68:69], v[106:107], v[60:61]
	s_waitcnt vmcnt(4)
	v_mul_f64 v[74:75], v[116:117], v[26:27]
	v_mul_f64 v[78:79], v[116:117], v[24:25]
	scratch_load_b128 v[116:119], off, off offset:396 ; 16-byte Folded Reload
	s_waitcnt vmcnt(4)
	v_mul_f64 v[82:83], v[122:123], v[54:55]
	v_mul_f64 v[86:87], v[122:123], v[52:53]
	scratch_load_b128 v[122:125], off, off offset:428 ; 16-byte Folded Reload
	;; [unrolled: 4-line block ×3, first 2 shown]
	s_waitcnt vmcnt(0) lgkmcnt(0)
	s_barrier
	buffer_gl0_inv
	v_mul_f64 v[98:99], v[134:135], v[50:51]
	v_mul_f64 v[102:103], v[134:135], v[48:49]
	v_fma_f64 v[60:61], v[104:105], v[60:61], v[64:65]
	v_fma_f64 v[36:37], v[108:109], v[36:37], v[66:67]
	v_fma_f64 v[38:39], v[108:109], v[38:39], -v[70:71]
	v_fma_f64 v[62:63], v[104:105], v[62:63], -v[68:69]
	v_fma_f64 v[24:25], v[114:115], v[24:25], v[74:75]
	v_fma_f64 v[26:27], v[114:115], v[26:27], -v[78:79]
	v_fma_f64 v[52:53], v[120:121], v[52:53], v[82:83]
	v_fma_f64 v[54:55], v[120:121], v[54:55], -v[86:87]
	v_fma_f64 v[32:33], v[126:127], v[32:33], v[90:91]
	v_fma_f64 v[34:35], v[126:127], v[34:35], -v[94:95]
	v_fma_f64 v[48:49], v[132:133], v[48:49], v[98:99]
	v_fma_f64 v[50:51], v[132:133], v[50:51], -v[102:103]
	v_add_f64 v[64:65], v[60:61], v[36:37]
	v_add_f64 v[66:67], v[62:63], v[38:39]
	v_add_f64 v[86:87], v[62:63], -v[38:39]
	v_add_f64 v[62:63], v[10:11], v[62:63]
	s_delay_alu instid0(VALU_DEP_4) | instskip(NEXT) | instid1(VALU_DEP_4)
	v_fma_f64 v[64:65], v[64:65], -0.5, v[8:9]
	v_fma_f64 v[66:67], v[66:67], -0.5, v[10:11]
	v_mul_f64 v[72:73], v[112:113], v[42:43]
	v_mul_f64 v[76:77], v[112:113], v[40:41]
	;; [unrolled: 1-line block ×8, first 2 shown]
	v_fma_f64 v[40:41], v[110:111], v[40:41], v[72:73]
	v_fma_f64 v[42:43], v[110:111], v[42:43], -v[76:77]
	v_fma_f64 v[28:29], v[116:117], v[28:29], v[80:81]
	v_fma_f64 v[30:31], v[116:117], v[30:31], -v[84:85]
	v_add_f64 v[84:85], v[8:9], v[60:61]
	v_fma_f64 v[56:57], v[122:123], v[56:57], v[88:89]
	v_fma_f64 v[58:59], v[122:123], v[58:59], -v[92:93]
	v_add_f64 v[60:61], v[60:61], -v[36:37]
	v_fma_f64 v[44:45], v[128:129], v[44:45], v[96:97]
	v_fma_f64 v[46:47], v[128:129], v[46:47], -v[100:101]
	v_add_f64 v[68:69], v[40:41], v[24:25]
	v_add_f64 v[70:71], v[42:43], v[26:27]
	;; [unrolled: 1-line block ×4, first 2 shown]
	v_add_f64 v[42:43], v[42:43], -v[26:27]
	v_add_f64 v[72:73], v[28:29], v[52:53]
	v_add_f64 v[74:75], v[30:31], v[54:55]
	v_add_f64 v[40:41], v[40:41], -v[24:25]
	v_add_f64 v[76:77], v[56:57], v[32:33]
	v_add_f64 v[78:79], v[58:59], v[34:35]
	;; [unrolled: 1-line block ×6, first 2 shown]
	v_add_f64 v[104:105], v[30:31], -v[54:55]
	v_add_f64 v[106:107], v[28:29], -v[52:53]
	;; [unrolled: 1-line block ×4, first 2 shown]
	v_fma_f64 v[28:29], v[86:87], s[10:11], v[64:65]
	v_fma_f64 v[30:31], v[60:61], s[2:3], v[66:67]
	v_add_f64 v[80:81], v[44:45], v[48:49]
	v_add_f64 v[82:83], v[46:47], v[50:51]
	;; [unrolled: 1-line block ×4, first 2 shown]
	v_add_f64 v[108:109], v[46:47], -v[50:51]
	v_add_f64 v[110:111], v[44:45], -v[48:49]
	v_fma_f64 v[68:69], v[68:69], -0.5, v[4:5]
	v_fma_f64 v[70:71], v[70:71], -0.5, v[6:7]
	v_add_f64 v[4:5], v[84:85], v[36:37]
	v_add_f64 v[6:7], v[62:63], v[38:39]
	;; [unrolled: 1-line block ×3, first 2 shown]
	v_fma_f64 v[72:73], v[72:73], -0.5, v[20:21]
	v_fma_f64 v[74:75], v[74:75], -0.5, v[22:23]
	v_add_f64 v[10:11], v[90:91], v[26:27]
	v_fma_f64 v[76:77], v[76:77], -0.5, v[12:13]
	v_fma_f64 v[78:79], v[78:79], -0.5, v[14:15]
	v_fma_f64 v[24:25], v[86:87], s[2:3], v[64:65]
	v_fma_f64 v[26:27], v[60:61], s[10:11], v[66:67]
	v_add_f64 v[12:13], v[92:93], v[52:53]
	v_add_f64 v[14:15], v[94:95], v[54:55]
	v_fma_f64 v[80:81], v[80:81], -0.5, v[16:17]
	v_fma_f64 v[82:83], v[82:83], -0.5, v[18:19]
	v_add_f64 v[16:17], v[96:97], v[32:33]
	v_add_f64 v[18:19], v[98:99], v[34:35]
	v_add_f64 v[20:21], v[100:101], v[48:49]
	v_add_f64 v[22:23], v[102:103], v[50:51]
	v_fma_f64 v[32:33], v[42:43], s[2:3], v[68:69]
	v_fma_f64 v[34:35], v[40:41], s[10:11], v[70:71]
	;; [unrolled: 1-line block ×16, first 2 shown]
	ds_store_b128 v171, v[4:7]
	ds_store_b128 v171, v[24:27] offset:1088
	ds_store_b128 v171, v[28:31] offset:2176
	ds_store_b128 v157, v[8:11]
	ds_store_b128 v157, v[32:35] offset:1088
	ds_store_b128 v157, v[36:39] offset:2176
	;; [unrolled: 3-line block ×5, first 2 shown]
	s_mov_b32 s1, exec_lo
	scratch_load_b32 v112, off, off offset:8 ; 4-byte Folded Reload
	s_and_b32 s0, s1, s0
	s_delay_alu instid0(SALU_CYCLE_1)
	s_mov_b32 exec_lo, s0
	s_cbranch_execz .LBB0_21
; %bb.20:
	s_clause 0x1
	scratch_load_b128 v[12:15], off, off offset:636
	scratch_load_b128 v[16:19], off, off offset:652
	s_waitcnt vmcnt(1)
	v_mul_f64 v[4:5], v[14:15], v[176:177]
	s_waitcnt vmcnt(0)
	v_mul_f64 v[6:7], v[18:19], v[153:154]
	v_mul_f64 v[8:9], v[14:15], v[178:179]
	;; [unrolled: 1-line block ×3, first 2 shown]
	s_delay_alu instid0(VALU_DEP_4) | instskip(NEXT) | instid1(VALU_DEP_4)
	v_fma_f64 v[4:5], v[12:13], v[178:179], -v[4:5]
	v_fma_f64 v[6:7], v[16:17], v[155:156], -v[6:7]
	s_delay_alu instid0(VALU_DEP_4) | instskip(NEXT) | instid1(VALU_DEP_4)
	v_fma_f64 v[8:9], v[12:13], v[176:177], v[8:9]
	v_fma_f64 v[10:11], v[16:17], v[153:154], v[10:11]
	s_delay_alu instid0(VALU_DEP_4) | instskip(NEXT) | instid1(VALU_DEP_4)
	v_add_f64 v[18:19], v[2:3], v[4:5]
	v_add_f64 v[12:13], v[4:5], v[6:7]
	v_add_f64 v[4:5], v[4:5], -v[6:7]
	s_delay_alu instid0(VALU_DEP_4)
	v_add_f64 v[14:15], v[8:9], v[10:11]
	v_add_f64 v[16:17], v[8:9], -v[10:11]
	v_add_f64 v[8:9], v[0:1], v[8:9]
	v_fma_f64 v[12:13], v[12:13], -0.5, v[2:3]
	v_add_f64 v[2:3], v[18:19], v[6:7]
	v_fma_f64 v[14:15], v[14:15], -0.5, v[0:1]
	s_delay_alu instid0(VALU_DEP_4) | instskip(NEXT) | instid1(VALU_DEP_4)
	v_add_f64 v[0:1], v[8:9], v[10:11]
	v_fma_f64 v[10:11], v[16:17], s[10:11], v[12:13]
	v_fma_f64 v[6:7], v[16:17], s[2:3], v[12:13]
	s_delay_alu instid0(VALU_DEP_4)
	v_fma_f64 v[8:9], v[4:5], s[2:3], v[14:15]
	v_fma_f64 v[4:5], v[4:5], s[10:11], v[14:15]
	v_lshlrev_b32_e32 v12, 4, v152
	ds_store_b128 v12, v[0:3] offset:22848
	ds_store_b128 v12, v[8:11] offset:23936
	;; [unrolled: 1-line block ×3, first 2 shown]
.LBB0_21:
	s_or_b32 exec_lo, exec_lo, s1
	s_waitcnt vmcnt(0) lgkmcnt(0)
	s_barrier
	buffer_gl0_inv
	ds_load_b128 v[0:3], v244 offset:3264
	ds_load_b128 v[4:7], v244 offset:6528
	;; [unrolled: 1-line block ×14, first 2 shown]
	s_clause 0x3
	scratch_load_b128 v[117:120], off, off offset:508
	scratch_load_b128 v[113:116], off, off offset:492
	;; [unrolled: 1-line block ×4, first 2 shown]
	s_mov_b32 s0, 0x667f3bcd
	s_mov_b32 s1, 0xbfe6a09e
	s_waitcnt lgkmcnt(13)
	v_mul_f64 v[56:57], v[150:151], v[2:3]
	v_mul_f64 v[58:59], v[150:151], v[0:1]
	scratch_load_b128 v[150:153], off, off offset:604 ; 16-byte Folded Reload
	s_waitcnt lgkmcnt(12)
	v_mul_f64 v[60:61], v[146:147], v[6:7]
	v_mul_f64 v[62:63], v[146:147], v[4:5]
	s_waitcnt lgkmcnt(11)
	v_mul_f64 v[64:65], v[142:143], v[10:11]
	v_mul_f64 v[66:67], v[142:143], v[8:9]
	;; [unrolled: 3-line block ×3, first 2 shown]
	s_waitcnt lgkmcnt(9)
	v_mul_f64 v[72:73], v[167:168], v[18:19]
	s_waitcnt lgkmcnt(8)
	v_mul_f64 v[74:75], v[163:164], v[22:23]
	v_mul_f64 v[76:77], v[163:164], v[20:21]
	;; [unrolled: 1-line block ×3, first 2 shown]
	s_mov_b32 s3, 0x3fe6a09e
	s_mov_b32 s2, s0
	v_fma_f64 v[56:57], v[148:149], v[0:1], v[56:57]
	v_fma_f64 v[58:59], v[148:149], v[2:3], -v[58:59]
	ds_load_b128 v[0:3], v244
	v_fma_f64 v[60:61], v[144:145], v[4:5], v[60:61]
	v_fma_f64 v[62:63], v[144:145], v[6:7], -v[62:63]
	ds_load_b128 v[4:7], v244 offset:1632
	v_fma_f64 v[8:9], v[140:141], v[8:9], v[64:65]
	v_fma_f64 v[10:11], v[140:141], v[10:11], -v[66:67]
	v_fma_f64 v[12:13], v[136:137], v[12:13], v[68:69]
	v_fma_f64 v[14:15], v[136:137], v[14:15], -v[70:71]
	v_fma_f64 v[16:17], v[165:166], v[16:17], v[72:73]
	v_fma_f64 v[20:21], v[161:162], v[20:21], v[74:75]
	v_fma_f64 v[22:23], v[161:162], v[22:23], -v[76:77]
	v_fma_f64 v[18:19], v[165:166], v[18:19], -v[78:79]
	s_waitcnt lgkmcnt(1)
	v_add_f64 v[12:13], v[0:1], -v[12:13]
	v_add_f64 v[14:15], v[2:3], -v[14:15]
	;; [unrolled: 1-line block ×6, first 2 shown]
	v_fma_f64 v[0:1], v[0:1], 2.0, -v[12:13]
	v_fma_f64 v[2:3], v[2:3], 2.0, -v[14:15]
	;; [unrolled: 1-line block ×6, first 2 shown]
	v_add_f64 v[64:65], v[12:13], v[22:23]
	v_add_f64 v[66:67], v[14:15], -v[20:21]
	s_waitcnt vmcnt(4)
	v_mul_f64 v[80:81], v[119:120], v[26:27]
	v_mul_f64 v[82:83], v[119:120], v[24:25]
	scratch_load_b128 v[119:122], off, off offset:524 ; 16-byte Folded Reload
	s_waitcnt vmcnt(3)
	v_mul_f64 v[88:89], v[125:126], v[34:35]
	v_mul_f64 v[90:91], v[125:126], v[32:33]
	scratch_load_b128 v[125:128], off, off offset:556 ; 16-byte Folded Reload
	v_mul_f64 v[84:85], v[115:116], v[30:31]
	v_mul_f64 v[86:87], v[115:116], v[28:29]
	s_waitcnt vmcnt(3)
	v_mul_f64 v[94:95], v[133:134], v[42:43]
	v_mul_f64 v[96:97], v[133:134], v[40:41]
	v_fma_f64 v[24:25], v[117:118], v[24:25], v[80:81]
	v_fma_f64 v[26:27], v[117:118], v[26:27], -v[82:83]
	v_fma_f64 v[32:33], v[123:124], v[32:33], v[88:89]
	v_fma_f64 v[34:35], v[123:124], v[34:35], -v[90:91]
	;; [unrolled: 2-line block ×4, first 2 shown]
	v_add_f64 v[24:25], v[8:9], -v[24:25]
	v_add_f64 v[26:27], v[10:11], -v[26:27]
	s_waitcnt lgkmcnt(0)
	s_delay_alu instid0(VALU_DEP_4) | instskip(NEXT) | instid1(VALU_DEP_4)
	v_add_f64 v[40:41], v[4:5], -v[40:41]
	v_add_f64 v[42:43], v[6:7], -v[42:43]
	s_delay_alu instid0(VALU_DEP_4) | instskip(NEXT) | instid1(VALU_DEP_4)
	v_fma_f64 v[8:9], v[8:9], 2.0, -v[24:25]
	v_fma_f64 v[10:11], v[10:11], 2.0, -v[26:27]
	v_add_f64 v[20:21], v[16:17], v[26:27]
	v_add_f64 v[22:23], v[18:19], -v[24:25]
	v_fma_f64 v[4:5], v[4:5], 2.0, -v[40:41]
	v_fma_f64 v[6:7], v[6:7], 2.0, -v[42:43]
	v_add_f64 v[8:9], v[56:57], -v[8:9]
	v_add_f64 v[10:11], v[58:59], -v[10:11]
	v_fma_f64 v[68:69], v[16:17], 2.0, -v[20:21]
	v_fma_f64 v[70:71], v[18:19], 2.0, -v[22:23]
	v_fma_f64 v[16:17], v[20:21], s[2:3], v[64:65]
	v_fma_f64 v[18:19], v[22:23], s[2:3], v[66:67]
	s_waitcnt vmcnt(1)
	v_mul_f64 v[92:93], v[121:122], v[38:39]
	v_mul_f64 v[106:107], v[121:122], v[36:37]
	s_waitcnt vmcnt(0)
	v_mul_f64 v[102:103], v[127:128], v[46:47]
	v_mul_f64 v[104:105], v[127:128], v[44:45]
	scratch_load_b128 v[127:130], off, off offset:572 ; 16-byte Folded Reload
	v_mul_f64 v[98:99], v[152:153], v[50:51]
	v_mul_f64 v[100:101], v[152:153], v[48:49]
	v_fma_f64 v[36:37], v[119:120], v[36:37], v[92:93]
	v_fma_f64 v[38:39], v[119:120], v[38:39], -v[106:107]
	v_fma_f64 v[44:45], v[125:126], v[44:45], v[102:103]
	v_fma_f64 v[46:47], v[125:126], v[46:47], -v[104:105]
	;; [unrolled: 2-line block ×3, first 2 shown]
	s_delay_alu instid0(VALU_DEP_4) | instskip(NEXT) | instid1(VALU_DEP_4)
	v_add_f64 v[44:45], v[28:29], -v[44:45]
	v_add_f64 v[46:47], v[30:31], -v[46:47]
	s_delay_alu instid0(VALU_DEP_4) | instskip(NEXT) | instid1(VALU_DEP_4)
	v_add_f64 v[48:49], v[32:33], -v[48:49]
	v_add_f64 v[50:51], v[34:35], -v[50:51]
	s_delay_alu instid0(VALU_DEP_4) | instskip(NEXT) | instid1(VALU_DEP_4)
	v_fma_f64 v[28:29], v[28:29], 2.0, -v[44:45]
	v_fma_f64 v[30:31], v[30:31], 2.0, -v[46:47]
	s_delay_alu instid0(VALU_DEP_4) | instskip(NEXT) | instid1(VALU_DEP_4)
	v_fma_f64 v[24:25], v[32:33], 2.0, -v[48:49]
	v_fma_f64 v[26:27], v[34:35], 2.0, -v[50:51]
	v_add_f64 v[50:51], v[40:41], v[50:51]
	v_add_f64 v[48:49], v[42:43], -v[48:49]
	s_delay_alu instid0(VALU_DEP_4) | instskip(NEXT) | instid1(VALU_DEP_4)
	v_add_f64 v[72:73], v[4:5], -v[24:25]
	v_add_f64 v[74:75], v[6:7], -v[26:27]
	s_delay_alu instid0(VALU_DEP_4) | instskip(NEXT) | instid1(VALU_DEP_4)
	v_fma_f64 v[76:77], v[40:41], 2.0, -v[50:51]
	v_fma_f64 v[78:79], v[42:43], 2.0, -v[48:49]
	v_fma_f64 v[40:41], v[56:57], 2.0, -v[8:9]
	v_fma_f64 v[42:43], v[58:59], 2.0, -v[10:11]
	v_fma_f64 v[56:57], v[4:5], 2.0, -v[72:73]
	v_fma_f64 v[58:59], v[6:7], 2.0, -v[74:75]
	v_fma_f64 v[4:5], v[22:23], s[2:3], v[16:17]
	v_fma_f64 v[6:7], v[20:21], s[0:1], v[18:19]
	s_waitcnt vmcnt(0)
	v_mul_f64 v[108:109], v[129:130], v[54:55]
	v_mul_f64 v[110:111], v[129:130], v[52:53]
	s_delay_alu instid0(VALU_DEP_2) | instskip(NEXT) | instid1(VALU_DEP_2)
	v_fma_f64 v[52:53], v[127:128], v[52:53], v[108:109]
	v_fma_f64 v[54:55], v[127:128], v[54:55], -v[110:111]
	s_delay_alu instid0(VALU_DEP_2) | instskip(NEXT) | instid1(VALU_DEP_2)
	v_add_f64 v[52:53], v[36:37], -v[52:53]
	v_add_f64 v[54:55], v[38:39], -v[54:55]
	s_delay_alu instid0(VALU_DEP_2) | instskip(NEXT) | instid1(VALU_DEP_2)
	v_fma_f64 v[32:33], v[36:37], 2.0, -v[52:53]
	v_fma_f64 v[34:35], v[38:39], 2.0, -v[54:55]
	v_add_f64 v[36:37], v[44:45], v[54:55]
	v_add_f64 v[38:39], v[46:47], -v[52:53]
	v_add_f64 v[52:53], v[0:1], -v[60:61]
	;; [unrolled: 1-line block ×3, first 2 shown]
	v_fma_f64 v[60:61], v[12:13], 2.0, -v[64:65]
	v_fma_f64 v[62:63], v[14:15], 2.0, -v[66:67]
	v_add_f64 v[12:13], v[28:29], -v[32:33]
	v_add_f64 v[14:15], v[30:31], -v[34:35]
	v_fma_f64 v[32:33], v[44:45], 2.0, -v[36:37]
	v_fma_f64 v[34:35], v[46:47], 2.0, -v[38:39]
	v_fma_f64 v[24:25], v[36:37], s[2:3], v[50:51]
	v_fma_f64 v[26:27], v[38:39], s[2:3], v[48:49]
	v_fma_f64 v[80:81], v[0:1], 2.0, -v[52:53]
	v_fma_f64 v[82:83], v[2:3], 2.0, -v[54:55]
	v_fma_f64 v[44:45], v[68:69], s[0:1], v[60:61]
	v_fma_f64 v[46:47], v[70:71], s[0:1], v[62:63]
	v_add_f64 v[0:1], v[52:53], v[10:11]
	v_add_f64 v[2:3], v[54:55], -v[8:9]
	v_fma_f64 v[28:29], v[28:29], 2.0, -v[12:13]
	v_fma_f64 v[30:31], v[30:31], 2.0, -v[14:15]
	v_fma_f64 v[84:85], v[32:33], s[0:1], v[76:77]
	v_fma_f64 v[86:87], v[34:35], s[0:1], v[78:79]
	v_add_f64 v[8:9], v[72:73], v[14:15]
	v_add_f64 v[10:11], v[74:75], -v[12:13]
	v_fma_f64 v[12:13], v[38:39], s[2:3], v[24:25]
	v_fma_f64 v[14:15], v[36:37], s[0:1], v[26:27]
	v_add_f64 v[16:17], v[80:81], -v[40:41]
	v_add_f64 v[18:19], v[82:83], -v[42:43]
	v_fma_f64 v[20:21], v[70:71], s[2:3], v[44:45]
	v_fma_f64 v[22:23], v[68:69], s[0:1], v[46:47]
	v_fma_f64 v[36:37], v[64:65], 2.0, -v[4:5]
	v_fma_f64 v[38:39], v[66:67], 2.0, -v[6:7]
	v_add_f64 v[24:25], v[56:57], -v[28:29]
	v_add_f64 v[26:27], v[58:59], -v[30:31]
	v_fma_f64 v[28:29], v[34:35], s[2:3], v[84:85]
	v_fma_f64 v[30:31], v[32:33], s[0:1], v[86:87]
	v_fma_f64 v[32:33], v[52:53], 2.0, -v[0:1]
	v_fma_f64 v[34:35], v[54:55], 2.0, -v[2:3]
	;; [unrolled: 1-line block ×14, first 2 shown]
	ds_store_b128 v244, v[0:3] offset:19584
	ds_store_b128 v244, v[8:11] offset:21216
	;; [unrolled: 1-line block ×12, first 2 shown]
	ds_store_b128 v244, v[48:51]
	ds_store_b128 v244, v[56:59] offset:1632
	ds_store_b128 v244, v[52:55] offset:3264
	;; [unrolled: 1-line block ×3, first 2 shown]
	s_waitcnt lgkmcnt(0)
	s_barrier
	buffer_gl0_inv
	s_and_b32 exec_lo, exec_lo, vcc_lo
	s_cbranch_execz .LBB0_23
; %bb.22:
	global_load_b128 v[0:3], v255, s[8:9]
	ds_load_b128 v[4:7], v244
	ds_load_b128 v[8:11], v255 offset:1536
	ds_load_b128 v[12:15], v255 offset:24576
	s_mov_b32 s0, 0x14141414
	s_mov_b32 s1, 0x3f441414
	s_mul_i32 s2, s5, 0x600
	s_mul_hi_u32 s3, s4, 0x600
	s_mul_i32 s10, s4, 0xc00
	s_add_i32 s3, s3, s2
	v_add_co_u32 v24, s2, s8, v255
	s_delay_alu instid0(VALU_DEP_1) | instskip(SKIP_4) | instid1(VALU_DEP_2)
	v_add_co_ci_u32_e64 v25, null, s9, 0, s2
	s_mul_i32 s2, s5, 0xc00
	s_waitcnt vmcnt(0) lgkmcnt(2)
	v_mul_f64 v[16:17], v[6:7], v[2:3]
	v_mul_f64 v[2:3], v[4:5], v[2:3]
	v_fma_f64 v[4:5], v[4:5], v[0:1], v[16:17]
	s_delay_alu instid0(VALU_DEP_2)
	v_fma_f64 v[2:3], v[0:1], v[6:7], -v[2:3]
	scratch_load_b64 v[0:1], off, off       ; 8-byte Folded Reload
	v_mad_u64_u32 v[16:17], null, s4, v112, 0
	v_mul_f64 v[2:3], v[2:3], s[0:1]
	s_waitcnt vmcnt(0)
	v_mov_b32_e32 v19, v0
	v_mul_f64 v[0:1], v[4:5], s[0:1]
	s_delay_alu instid0(VALU_DEP_4) | instskip(NEXT) | instid1(VALU_DEP_3)
	v_mov_b32_e32 v5, v17
	v_mad_u64_u32 v[6:7], null, s6, v19, 0
	s_mul_i32 s6, s4, 0x600
	s_delay_alu instid0(VALU_DEP_1) | instskip(NEXT) | instid1(VALU_DEP_1)
	v_mov_b32_e32 v4, v7
	v_mad_u64_u32 v[17:18], null, s7, v19, v[4:5]
	s_delay_alu instid0(VALU_DEP_3) | instskip(SKIP_1) | instid1(SALU_CYCLE_1)
	v_mad_u64_u32 v[18:19], null, s5, v112, v[5:6]
	s_mul_hi_u32 s7, s4, 0xc00
	s_add_i32 s7, s7, s2
	s_delay_alu instid0(VALU_DEP_2) | instskip(NEXT) | instid1(VALU_DEP_2)
	v_mov_b32_e32 v7, v17
	v_mov_b32_e32 v17, v18
	s_delay_alu instid0(VALU_DEP_2) | instskip(NEXT) | instid1(VALU_DEP_2)
	v_lshlrev_b64 v[4:5], 4, v[6:7]
	v_lshlrev_b64 v[6:7], 4, v[16:17]
	s_delay_alu instid0(VALU_DEP_2) | instskip(NEXT) | instid1(VALU_DEP_3)
	v_add_co_u32 v22, vcc_lo, s12, v4
	v_add_co_ci_u32_e32 v23, vcc_lo, s13, v5, vcc_lo
	s_delay_alu instid0(VALU_DEP_2) | instskip(NEXT) | instid1(VALU_DEP_2)
	v_add_co_u32 v4, vcc_lo, v22, v6
	v_add_co_ci_u32_e32 v5, vcc_lo, v23, v7, vcc_lo
	s_delay_alu instid0(VALU_DEP_2)
	v_add_co_u32 v16, vcc_lo, v4, s6
	global_store_b128 v[4:5], v[0:3], off
	global_load_b128 v[0:3], v255, s[8:9] offset:1536
	v_add_co_ci_u32_e32 v17, vcc_lo, s3, v5, vcc_lo
	s_waitcnt vmcnt(0) lgkmcnt(1)
	v_mul_f64 v[6:7], v[10:11], v[2:3]
	v_mul_f64 v[2:3], v[8:9], v[2:3]
	s_delay_alu instid0(VALU_DEP_2) | instskip(NEXT) | instid1(VALU_DEP_2)
	v_fma_f64 v[6:7], v[8:9], v[0:1], v[6:7]
	v_fma_f64 v[2:3], v[0:1], v[10:11], -v[2:3]
	s_delay_alu instid0(VALU_DEP_2) | instskip(NEXT) | instid1(VALU_DEP_2)
	v_mul_f64 v[0:1], v[6:7], s[0:1]
	v_mul_f64 v[2:3], v[2:3], s[0:1]
	global_store_b128 v[16:17], v[0:3], off
	global_load_b128 v[0:3], v255, s[8:9] offset:3072
	ds_load_b128 v[4:7], v255 offset:3072
	ds_load_b128 v[8:11], v255 offset:4608
	scratch_load_b32 v26, off, off offset:632 ; 4-byte Folded Reload
	s_waitcnt vmcnt(1) lgkmcnt(1)
	v_mul_f64 v[18:19], v[6:7], v[2:3]
	v_mul_f64 v[2:3], v[4:5], v[2:3]
	s_delay_alu instid0(VALU_DEP_2) | instskip(NEXT) | instid1(VALU_DEP_2)
	v_fma_f64 v[4:5], v[4:5], v[0:1], v[18:19]
	v_fma_f64 v[2:3], v[0:1], v[6:7], -v[2:3]
	s_delay_alu instid0(VALU_DEP_2) | instskip(NEXT) | instid1(VALU_DEP_2)
	v_mul_f64 v[0:1], v[4:5], s[0:1]
	v_mul_f64 v[2:3], v[2:3], s[0:1]
	v_add_co_u32 v4, vcc_lo, v16, s6
	v_add_co_ci_u32_e32 v5, vcc_lo, s3, v17, vcc_lo
	v_add_co_u32 v16, vcc_lo, 0x1000, v24
	v_add_co_ci_u32_e32 v17, vcc_lo, 0, v25, vcc_lo
	s_delay_alu instid0(VALU_DEP_4) | instskip(NEXT) | instid1(VALU_DEP_4)
	v_add_co_u32 v18, vcc_lo, v4, s6
	v_add_co_ci_u32_e32 v19, vcc_lo, s3, v5, vcc_lo
	global_store_b128 v[4:5], v[0:3], off
	global_load_b128 v[0:3], v[16:17], off offset:512
	s_waitcnt vmcnt(1)
	v_lshlrev_b32_e32 v4, 4, v26
	s_waitcnt vmcnt(0) lgkmcnt(0)
	v_mul_f64 v[6:7], v[10:11], v[2:3]
	v_mul_f64 v[2:3], v[8:9], v[2:3]
	s_delay_alu instid0(VALU_DEP_2) | instskip(NEXT) | instid1(VALU_DEP_2)
	v_fma_f64 v[6:7], v[8:9], v[0:1], v[6:7]
	v_fma_f64 v[2:3], v[0:1], v[10:11], -v[2:3]
	s_delay_alu instid0(VALU_DEP_2) | instskip(NEXT) | instid1(VALU_DEP_2)
	v_mul_f64 v[0:1], v[6:7], s[0:1]
	v_mul_f64 v[2:3], v[2:3], s[0:1]
	global_store_b128 v[18:19], v[0:3], off
	global_load_b128 v[0:3], v4, s[8:9]
	ds_load_b128 v[4:7], v255 offset:6144
	ds_load_b128 v[8:11], v255 offset:7680
	s_waitcnt vmcnt(0) lgkmcnt(1)
	v_mul_f64 v[20:21], v[6:7], v[2:3]
	v_mul_f64 v[2:3], v[4:5], v[2:3]
	s_delay_alu instid0(VALU_DEP_2) | instskip(NEXT) | instid1(VALU_DEP_2)
	v_fma_f64 v[4:5], v[4:5], v[0:1], v[20:21]
	v_fma_f64 v[2:3], v[0:1], v[6:7], -v[2:3]
	v_mad_u64_u32 v[6:7], null, s4, v26, 0
	s_delay_alu instid0(VALU_DEP_3) | instskip(NEXT) | instid1(VALU_DEP_2)
	v_mul_f64 v[0:1], v[4:5], s[0:1]
	v_mov_b32_e32 v4, v7
	s_delay_alu instid0(VALU_DEP_4) | instskip(NEXT) | instid1(VALU_DEP_2)
	v_mul_f64 v[2:3], v[2:3], s[0:1]
	v_mad_u64_u32 v[20:21], null, s5, v26, v[4:5]
	s_delay_alu instid0(VALU_DEP_1) | instskip(NEXT) | instid1(VALU_DEP_1)
	v_mov_b32_e32 v7, v20
	v_lshlrev_b64 v[4:5], 4, v[6:7]
	s_delay_alu instid0(VALU_DEP_1) | instskip(NEXT) | instid1(VALU_DEP_2)
	v_add_co_u32 v4, vcc_lo, v22, v4
	v_add_co_ci_u32_e32 v5, vcc_lo, v23, v5, vcc_lo
	global_store_b128 v[4:5], v[0:3], off
	global_load_b128 v[0:3], v[16:17], off offset:3584
	v_add_co_u32 v16, vcc_lo, v18, s10
	v_add_co_ci_u32_e32 v17, vcc_lo, s7, v19, vcc_lo
	v_add_co_u32 v18, vcc_lo, 0x2000, v24
	v_add_co_ci_u32_e32 v19, vcc_lo, 0, v25, vcc_lo
	s_waitcnt vmcnt(0) lgkmcnt(0)
	v_mul_f64 v[4:5], v[10:11], v[2:3]
	v_mul_f64 v[2:3], v[8:9], v[2:3]
	s_delay_alu instid0(VALU_DEP_2) | instskip(NEXT) | instid1(VALU_DEP_2)
	v_fma_f64 v[4:5], v[8:9], v[0:1], v[4:5]
	v_fma_f64 v[2:3], v[0:1], v[10:11], -v[2:3]
	s_delay_alu instid0(VALU_DEP_2) | instskip(NEXT) | instid1(VALU_DEP_2)
	v_mul_f64 v[0:1], v[4:5], s[0:1]
	v_mul_f64 v[2:3], v[2:3], s[0:1]
	global_store_b128 v[16:17], v[0:3], off
	global_load_b128 v[0:3], v[18:19], off offset:1024
	ds_load_b128 v[4:7], v255 offset:9216
	ds_load_b128 v[8:11], v255 offset:10752
	s_waitcnt vmcnt(0) lgkmcnt(1)
	v_mul_f64 v[20:21], v[6:7], v[2:3]
	v_mul_f64 v[2:3], v[4:5], v[2:3]
	s_delay_alu instid0(VALU_DEP_2) | instskip(NEXT) | instid1(VALU_DEP_2)
	v_fma_f64 v[4:5], v[4:5], v[0:1], v[20:21]
	v_fma_f64 v[2:3], v[0:1], v[6:7], -v[2:3]
	scratch_load_b32 v20, off, off offset:628 ; 4-byte Folded Reload
	v_mul_f64 v[0:1], v[4:5], s[0:1]
	v_mul_f64 v[2:3], v[2:3], s[0:1]
	v_add_co_u32 v4, vcc_lo, v16, s6
	v_add_co_ci_u32_e32 v5, vcc_lo, s3, v17, vcc_lo
	s_delay_alu instid0(VALU_DEP_2) | instskip(NEXT) | instid1(VALU_DEP_2)
	v_add_co_u32 v16, vcc_lo, v4, s6
	v_add_co_ci_u32_e32 v17, vcc_lo, s3, v5, vcc_lo
	global_store_b128 v[4:5], v[0:3], off
	global_load_b128 v[0:3], v[18:19], off offset:2560
	s_waitcnt vmcnt(1)
	v_lshlrev_b32_e32 v4, 4, v20
	s_waitcnt vmcnt(0) lgkmcnt(0)
	v_mul_f64 v[6:7], v[10:11], v[2:3]
	v_mul_f64 v[2:3], v[8:9], v[2:3]
	s_delay_alu instid0(VALU_DEP_2) | instskip(NEXT) | instid1(VALU_DEP_2)
	v_fma_f64 v[6:7], v[8:9], v[0:1], v[6:7]
	v_fma_f64 v[2:3], v[0:1], v[10:11], -v[2:3]
	s_delay_alu instid0(VALU_DEP_2) | instskip(NEXT) | instid1(VALU_DEP_2)
	v_mul_f64 v[0:1], v[6:7], s[0:1]
	v_mul_f64 v[2:3], v[2:3], s[0:1]
	global_store_b128 v[16:17], v[0:3], off
	global_load_b128 v[0:3], v4, s[8:9]
	ds_load_b128 v[4:7], v255 offset:12288
	ds_load_b128 v[8:11], v255 offset:13824
	s_waitcnt vmcnt(0) lgkmcnt(1)
	v_mul_f64 v[18:19], v[6:7], v[2:3]
	v_mul_f64 v[2:3], v[4:5], v[2:3]
	s_delay_alu instid0(VALU_DEP_2) | instskip(NEXT) | instid1(VALU_DEP_2)
	v_fma_f64 v[4:5], v[4:5], v[0:1], v[18:19]
	v_fma_f64 v[2:3], v[0:1], v[6:7], -v[2:3]
	v_mad_u64_u32 v[6:7], null, s4, v20, 0
	s_delay_alu instid0(VALU_DEP_3) | instskip(NEXT) | instid1(VALU_DEP_3)
	v_mul_f64 v[0:1], v[4:5], s[0:1]
	v_mul_f64 v[2:3], v[2:3], s[0:1]
	s_delay_alu instid0(VALU_DEP_3) | instskip(NEXT) | instid1(VALU_DEP_1)
	v_mov_b32_e32 v4, v7
	v_mad_u64_u32 v[18:19], null, s5, v20, v[4:5]
	s_delay_alu instid0(VALU_DEP_1) | instskip(NEXT) | instid1(VALU_DEP_1)
	v_mov_b32_e32 v7, v18
	v_lshlrev_b64 v[4:5], 4, v[6:7]
	s_delay_alu instid0(VALU_DEP_1) | instskip(NEXT) | instid1(VALU_DEP_2)
	v_add_co_u32 v4, vcc_lo, v22, v4
	v_add_co_ci_u32_e32 v5, vcc_lo, v23, v5, vcc_lo
	v_add_co_u32 v6, vcc_lo, 0x3000, v24
	v_add_co_ci_u32_e32 v7, vcc_lo, 0, v25, vcc_lo
	;; [unrolled: 2-line block ×3, first 2 shown]
	global_store_b128 v[4:5], v[0:3], off
	global_load_b128 v[0:3], v[6:7], off offset:1536
	s_waitcnt vmcnt(0) lgkmcnt(0)
	v_mul_f64 v[4:5], v[10:11], v[2:3]
	v_mul_f64 v[2:3], v[8:9], v[2:3]
	s_delay_alu instid0(VALU_DEP_2) | instskip(NEXT) | instid1(VALU_DEP_2)
	v_fma_f64 v[4:5], v[8:9], v[0:1], v[4:5]
	v_fma_f64 v[2:3], v[0:1], v[10:11], -v[2:3]
	s_delay_alu instid0(VALU_DEP_2) | instskip(NEXT) | instid1(VALU_DEP_2)
	v_mul_f64 v[0:1], v[4:5], s[0:1]
	v_mul_f64 v[2:3], v[2:3], s[0:1]
	global_store_b128 v[16:17], v[0:3], off
	global_load_b128 v[0:3], v[6:7], off offset:3072
	ds_load_b128 v[4:7], v255 offset:15360
	ds_load_b128 v[8:11], v255 offset:16896
	scratch_load_b32 v26, off, off offset:624 ; 4-byte Folded Reload
	s_waitcnt vmcnt(1) lgkmcnt(1)
	v_mul_f64 v[18:19], v[6:7], v[2:3]
	v_mul_f64 v[2:3], v[4:5], v[2:3]
	s_delay_alu instid0(VALU_DEP_2) | instskip(NEXT) | instid1(VALU_DEP_2)
	v_fma_f64 v[4:5], v[4:5], v[0:1], v[18:19]
	v_fma_f64 v[2:3], v[0:1], v[6:7], -v[2:3]
	s_delay_alu instid0(VALU_DEP_2) | instskip(NEXT) | instid1(VALU_DEP_2)
	v_mul_f64 v[0:1], v[4:5], s[0:1]
	v_mul_f64 v[2:3], v[2:3], s[0:1]
	v_add_co_u32 v4, vcc_lo, v16, s6
	v_add_co_ci_u32_e32 v5, vcc_lo, s3, v17, vcc_lo
	v_add_co_u32 v16, vcc_lo, 0x4000, v24
	v_add_co_ci_u32_e32 v17, vcc_lo, 0, v25, vcc_lo
	s_delay_alu instid0(VALU_DEP_4) | instskip(NEXT) | instid1(VALU_DEP_4)
	v_add_co_u32 v18, vcc_lo, v4, s6
	v_add_co_ci_u32_e32 v19, vcc_lo, s3, v5, vcc_lo
	global_store_b128 v[4:5], v[0:3], off
	global_load_b128 v[0:3], v[16:17], off offset:512
	s_waitcnt vmcnt(1)
	v_lshlrev_b32_e32 v4, 4, v26
	s_waitcnt vmcnt(0) lgkmcnt(0)
	v_mul_f64 v[6:7], v[10:11], v[2:3]
	v_mul_f64 v[2:3], v[8:9], v[2:3]
	s_delay_alu instid0(VALU_DEP_2) | instskip(NEXT) | instid1(VALU_DEP_2)
	v_fma_f64 v[6:7], v[8:9], v[0:1], v[6:7]
	v_fma_f64 v[2:3], v[0:1], v[10:11], -v[2:3]
	s_delay_alu instid0(VALU_DEP_2) | instskip(NEXT) | instid1(VALU_DEP_2)
	v_mul_f64 v[0:1], v[6:7], s[0:1]
	v_mul_f64 v[2:3], v[2:3], s[0:1]
	global_store_b128 v[18:19], v[0:3], off
	global_load_b128 v[0:3], v4, s[8:9]
	ds_load_b128 v[4:7], v255 offset:18432
	ds_load_b128 v[8:11], v255 offset:19968
	s_waitcnt vmcnt(0) lgkmcnt(1)
	v_mul_f64 v[20:21], v[6:7], v[2:3]
	v_mul_f64 v[2:3], v[4:5], v[2:3]
	s_delay_alu instid0(VALU_DEP_2) | instskip(NEXT) | instid1(VALU_DEP_2)
	v_fma_f64 v[4:5], v[4:5], v[0:1], v[20:21]
	v_fma_f64 v[2:3], v[0:1], v[6:7], -v[2:3]
	v_mad_u64_u32 v[6:7], null, s4, v26, 0
	s_delay_alu instid0(VALU_DEP_3) | instskip(NEXT) | instid1(VALU_DEP_3)
	v_mul_f64 v[0:1], v[4:5], s[0:1]
	v_mul_f64 v[2:3], v[2:3], s[0:1]
	s_delay_alu instid0(VALU_DEP_3) | instskip(NEXT) | instid1(VALU_DEP_1)
	v_mov_b32_e32 v4, v7
	v_mad_u64_u32 v[20:21], null, s5, v26, v[4:5]
	s_delay_alu instid0(VALU_DEP_1) | instskip(NEXT) | instid1(VALU_DEP_1)
	v_mov_b32_e32 v7, v20
	v_lshlrev_b64 v[4:5], 4, v[6:7]
	s_delay_alu instid0(VALU_DEP_1) | instskip(NEXT) | instid1(VALU_DEP_2)
	v_add_co_u32 v4, vcc_lo, v22, v4
	v_add_co_ci_u32_e32 v5, vcc_lo, v23, v5, vcc_lo
	global_store_b128 v[4:5], v[0:3], off
	global_load_b128 v[0:3], v[16:17], off offset:3584
	v_add_co_u32 v16, vcc_lo, v18, s10
	v_add_co_ci_u32_e32 v17, vcc_lo, s7, v19, vcc_lo
	v_add_co_u32 v18, vcc_lo, 0x5000, v24
	v_add_co_ci_u32_e32 v19, vcc_lo, 0, v25, vcc_lo
	s_waitcnt vmcnt(0) lgkmcnt(0)
	v_mul_f64 v[4:5], v[10:11], v[2:3]
	v_mul_f64 v[2:3], v[8:9], v[2:3]
	s_delay_alu instid0(VALU_DEP_2) | instskip(NEXT) | instid1(VALU_DEP_2)
	v_fma_f64 v[4:5], v[8:9], v[0:1], v[4:5]
	v_fma_f64 v[2:3], v[0:1], v[10:11], -v[2:3]
	s_delay_alu instid0(VALU_DEP_2) | instskip(NEXT) | instid1(VALU_DEP_2)
	v_mul_f64 v[0:1], v[4:5], s[0:1]
	v_mul_f64 v[2:3], v[2:3], s[0:1]
	global_store_b128 v[16:17], v[0:3], off
	global_load_b128 v[0:3], v[18:19], off offset:1024
	ds_load_b128 v[4:7], v255 offset:21504
	ds_load_b128 v[8:11], v255 offset:23040
	s_waitcnt vmcnt(0) lgkmcnt(1)
	v_mul_f64 v[20:21], v[6:7], v[2:3]
	v_mul_f64 v[2:3], v[4:5], v[2:3]
	s_delay_alu instid0(VALU_DEP_2) | instskip(NEXT) | instid1(VALU_DEP_2)
	v_fma_f64 v[4:5], v[4:5], v[0:1], v[20:21]
	v_fma_f64 v[2:3], v[0:1], v[6:7], -v[2:3]
	s_delay_alu instid0(VALU_DEP_2) | instskip(NEXT) | instid1(VALU_DEP_2)
	v_mul_f64 v[0:1], v[4:5], s[0:1]
	v_mul_f64 v[2:3], v[2:3], s[0:1]
	v_add_co_u32 v4, vcc_lo, v16, s6
	v_add_co_ci_u32_e32 v5, vcc_lo, s3, v17, vcc_lo
	global_store_b128 v[4:5], v[0:3], off
	global_load_b128 v[0:3], v[18:19], off offset:2560
	v_add_co_u32 v4, vcc_lo, v4, s6
	v_add_co_ci_u32_e32 v5, vcc_lo, s3, v5, vcc_lo
	s_waitcnt vmcnt(0) lgkmcnt(0)
	v_mul_f64 v[6:7], v[10:11], v[2:3]
	v_mul_f64 v[2:3], v[8:9], v[2:3]
	s_delay_alu instid0(VALU_DEP_2) | instskip(SKIP_3) | instid1(VALU_DEP_2)
	v_fma_f64 v[6:7], v[8:9], v[0:1], v[6:7]
	scratch_load_b32 v9, off, off offset:620 ; 4-byte Folded Reload
	v_fma_f64 v[2:3], v[0:1], v[10:11], -v[2:3]
	v_mul_f64 v[0:1], v[6:7], s[0:1]
	v_mul_f64 v[2:3], v[2:3], s[0:1]
	global_store_b128 v[4:5], v[0:3], off
	s_waitcnt vmcnt(0)
	v_lshlrev_b32_e32 v6, 4, v9
	global_load_b128 v[0:3], v6, s[8:9]
	v_mad_u64_u32 v[6:7], null, s4, v9, 0
	s_waitcnt vmcnt(0)
	v_mul_f64 v[4:5], v[14:15], v[2:3]
	v_mul_f64 v[2:3], v[12:13], v[2:3]
	s_delay_alu instid0(VALU_DEP_2) | instskip(NEXT) | instid1(VALU_DEP_2)
	v_fma_f64 v[4:5], v[12:13], v[0:1], v[4:5]
	v_fma_f64 v[2:3], v[0:1], v[14:15], -v[2:3]
	s_delay_alu instid0(VALU_DEP_2) | instskip(NEXT) | instid1(VALU_DEP_2)
	v_mul_f64 v[0:1], v[4:5], s[0:1]
	v_mul_f64 v[2:3], v[2:3], s[0:1]
	v_mov_b32_e32 v4, v7
	s_delay_alu instid0(VALU_DEP_1) | instskip(NEXT) | instid1(VALU_DEP_1)
	v_mad_u64_u32 v[7:8], null, s5, v9, v[4:5]
	v_lshlrev_b64 v[4:5], 4, v[6:7]
	s_delay_alu instid0(VALU_DEP_1) | instskip(NEXT) | instid1(VALU_DEP_2)
	v_add_co_u32 v4, vcc_lo, v22, v4
	v_add_co_ci_u32_e32 v5, vcc_lo, v23, v5, vcc_lo
	global_store_b128 v[4:5], v[0:3], off
.LBB0_23:
	s_endpgm
	.section	.rodata,"a",@progbits
	.p2align	6, 0x0
	.amdhsa_kernel bluestein_single_fwd_len1632_dim1_dp_op_CI_CI
		.amdhsa_group_segment_fixed_size 26112
		.amdhsa_private_segment_fixed_size 760
		.amdhsa_kernarg_size 104
		.amdhsa_user_sgpr_count 15
		.amdhsa_user_sgpr_dispatch_ptr 0
		.amdhsa_user_sgpr_queue_ptr 0
		.amdhsa_user_sgpr_kernarg_segment_ptr 1
		.amdhsa_user_sgpr_dispatch_id 0
		.amdhsa_user_sgpr_private_segment_size 0
		.amdhsa_wavefront_size32 1
		.amdhsa_uses_dynamic_stack 0
		.amdhsa_enable_private_segment 1
		.amdhsa_system_sgpr_workgroup_id_x 1
		.amdhsa_system_sgpr_workgroup_id_y 0
		.amdhsa_system_sgpr_workgroup_id_z 0
		.amdhsa_system_sgpr_workgroup_info 0
		.amdhsa_system_vgpr_workitem_id 0
		.amdhsa_next_free_vgpr 256
		.amdhsa_next_free_sgpr 58
		.amdhsa_reserve_vcc 1
		.amdhsa_float_round_mode_32 0
		.amdhsa_float_round_mode_16_64 0
		.amdhsa_float_denorm_mode_32 3
		.amdhsa_float_denorm_mode_16_64 3
		.amdhsa_dx10_clamp 1
		.amdhsa_ieee_mode 1
		.amdhsa_fp16_overflow 0
		.amdhsa_workgroup_processor_mode 1
		.amdhsa_memory_ordered 1
		.amdhsa_forward_progress 0
		.amdhsa_shared_vgpr_count 0
		.amdhsa_exception_fp_ieee_invalid_op 0
		.amdhsa_exception_fp_denorm_src 0
		.amdhsa_exception_fp_ieee_div_zero 0
		.amdhsa_exception_fp_ieee_overflow 0
		.amdhsa_exception_fp_ieee_underflow 0
		.amdhsa_exception_fp_ieee_inexact 0
		.amdhsa_exception_int_div_zero 0
	.end_amdhsa_kernel
	.text
.Lfunc_end0:
	.size	bluestein_single_fwd_len1632_dim1_dp_op_CI_CI, .Lfunc_end0-bluestein_single_fwd_len1632_dim1_dp_op_CI_CI
                                        ; -- End function
	.section	.AMDGPU.csdata,"",@progbits
; Kernel info:
; codeLenInByte = 32784
; NumSgprs: 60
; NumVgprs: 256
; ScratchSize: 760
; MemoryBound: 0
; FloatMode: 240
; IeeeMode: 1
; LDSByteSize: 26112 bytes/workgroup (compile time only)
; SGPRBlocks: 7
; VGPRBlocks: 31
; NumSGPRsForWavesPerEU: 60
; NumVGPRsForWavesPerEU: 256
; Occupancy: 5
; WaveLimiterHint : 1
; COMPUTE_PGM_RSRC2:SCRATCH_EN: 1
; COMPUTE_PGM_RSRC2:USER_SGPR: 15
; COMPUTE_PGM_RSRC2:TRAP_HANDLER: 0
; COMPUTE_PGM_RSRC2:TGID_X_EN: 1
; COMPUTE_PGM_RSRC2:TGID_Y_EN: 0
; COMPUTE_PGM_RSRC2:TGID_Z_EN: 0
; COMPUTE_PGM_RSRC2:TIDIG_COMP_CNT: 0
	.text
	.p2alignl 7, 3214868480
	.fill 96, 4, 3214868480
	.type	__hip_cuid_b590d67ffa3c66d8,@object ; @__hip_cuid_b590d67ffa3c66d8
	.section	.bss,"aw",@nobits
	.globl	__hip_cuid_b590d67ffa3c66d8
__hip_cuid_b590d67ffa3c66d8:
	.byte	0                               ; 0x0
	.size	__hip_cuid_b590d67ffa3c66d8, 1

	.ident	"AMD clang version 19.0.0git (https://github.com/RadeonOpenCompute/llvm-project roc-6.4.0 25133 c7fe45cf4b819c5991fe208aaa96edf142730f1d)"
	.section	".note.GNU-stack","",@progbits
	.addrsig
	.addrsig_sym __hip_cuid_b590d67ffa3c66d8
	.amdgpu_metadata
---
amdhsa.kernels:
  - .args:
      - .actual_access:  read_only
        .address_space:  global
        .offset:         0
        .size:           8
        .value_kind:     global_buffer
      - .actual_access:  read_only
        .address_space:  global
        .offset:         8
        .size:           8
        .value_kind:     global_buffer
      - .actual_access:  read_only
        .address_space:  global
        .offset:         16
        .size:           8
        .value_kind:     global_buffer
      - .actual_access:  read_only
        .address_space:  global
        .offset:         24
        .size:           8
        .value_kind:     global_buffer
      - .actual_access:  read_only
        .address_space:  global
        .offset:         32
        .size:           8
        .value_kind:     global_buffer
      - .offset:         40
        .size:           8
        .value_kind:     by_value
      - .address_space:  global
        .offset:         48
        .size:           8
        .value_kind:     global_buffer
      - .address_space:  global
        .offset:         56
        .size:           8
        .value_kind:     global_buffer
      - .address_space:  global
        .offset:         64
        .size:           8
        .value_kind:     global_buffer
      - .address_space:  global
        .offset:         72
        .size:           8
        .value_kind:     global_buffer
      - .offset:         80
        .size:           4
        .value_kind:     by_value
      - .address_space:  global
        .offset:         88
        .size:           8
        .value_kind:     global_buffer
      - .address_space:  global
        .offset:         96
        .size:           8
        .value_kind:     global_buffer
    .group_segment_fixed_size: 26112
    .kernarg_segment_align: 8
    .kernarg_segment_size: 104
    .language:       OpenCL C
    .language_version:
      - 2
      - 0
    .max_flat_workgroup_size: 102
    .name:           bluestein_single_fwd_len1632_dim1_dp_op_CI_CI
    .private_segment_fixed_size: 760
    .sgpr_count:     60
    .sgpr_spill_count: 0
    .symbol:         bluestein_single_fwd_len1632_dim1_dp_op_CI_CI.kd
    .uniform_work_group_size: 1
    .uses_dynamic_stack: false
    .vgpr_count:     256
    .vgpr_spill_count: 189
    .wavefront_size: 32
    .workgroup_processor_mode: 1
amdhsa.target:   amdgcn-amd-amdhsa--gfx1100
amdhsa.version:
  - 1
  - 2
...

	.end_amdgpu_metadata
